;; amdgpu-corpus repo=ROCm/aiter kind=harvested arch=n/a opt=n/a

/root/src/amdgpu-assembly/repos/ROCm__aiter/hsa/gfx950/fmoe/silu/fmoe_fp16_pertokenInt8_g1u1_vs_smf_silu_1tg_32x320.co:	file format elf64-amdgpu

Disassembly of section .text:

0000000000002e00 <_ZN5aiter50fmoe_fp16_pertokenInt8_g1u1_vs_smf_silu_1tg_32x320E>:
	s_and_b32 s1, s1, 0xffff                                   // 000000002E00: 8601FF01 0000FFFF
	s_load_dwordx2 s[8:9], s[0:1], 0x0                         // 000000002E08: C0060200 00000000
	s_load_dwordx2 s[20:21], s[0:1], 0x10                      // 000000002E10: C0060500 00000010
	s_load_dwordx2 s[24:25], s[0:1], 0x20                      // 000000002E18: C0060600 00000020
	s_load_dwordx2 s[50:51], s[0:1], 0x30                      // 000000002E20: C0060C80 00000030
	s_load_dwordx2 s[12:13], s[0:1], 0x40                      // 000000002E28: C0060300 00000040
	s_load_dwordx2 s[28:29], s[0:1], 0x50                      // 000000002E30: C0060700 00000050
	s_load_dwordx2 s[32:33], s[0:1], 0x60                      // 000000002E38: C0060800 00000060
	s_load_dwordx2 s[16:17], s[0:1], 0x70                      // 000000002E40: C0060400 00000070
	s_load_dwordx2 s[36:37], s[0:1], 0x80                      // 000000002E48: C0060900 00000080
	s_load_dwordx2 s[44:45], s[0:1], 0x90                      // 000000002E50: C0060B00 00000090
	s_load_dwordx2 s[40:41], s[0:1], 0xa0                      // 000000002E58: C0060A00 000000A0
	s_load_dwordx2 s[46:47], s[0:1], 0xb0                      // 000000002E60: C0060B80 000000B0
	s_load_dword s64, s[0:1], 0xc0                             // 000000002E68: C0021000 000000C0
	s_load_dword s65, s[0:1], 0xd0                             // 000000002E70: C0021040 000000D0
	s_load_dword s66, s[0:1], 0xe0                             // 000000002E78: C0021080 000000E0
	s_load_dword s67, s[0:1], 0xf0                             // 000000002E80: C00210C0 000000F0
	s_load_dword s68, s[0:1], 0x100                            // 000000002E88: C0021100 00000100
	s_load_dword s69, s[0:1], 0x110                            // 000000002E90: C0021140 00000110
	s_load_dword s70, s[0:1], 0x120                            // 000000002E98: C0021180 00000120
	s_load_dword s71, s[0:1], 0x130                            // 000000002EA0: C00211C0 00000130
	s_load_dword s72, s[0:1], 0x140                            // 000000002EA8: C0021200 00000140
	s_load_dword s73, s[0:1], 0x150                            // 000000002EB0: C0021240 00000150
	s_load_dword s74, s[0:1], 0x160                            // 000000002EB8: C0021280 00000160
	s_load_dword s75, s[0:1], 0x170                            // 000000002EC0: C00212C0 00000170
	s_load_dword s76, s[0:1], 0x180                            // 000000002EC8: C0021300 00000180
	s_load_dword s63, s[0:1], 0x190                            // 000000002ED0: C0020FC0 00000190
	v_lshrrev_b32_e32 v1, 10, v0                               // 000000002ED8: 2002008A
	v_lshrrev_b32_e32 v2, 10, v1                               // 000000002EDC: 2004028A
	v_and_b32_e32 v2, 0x3ff, v2                                // 000000002EE0: 260404FF 000003FF
	v_and_b32_e32 v1, 0x3ff, v1                                // 000000002EE8: 260202FF 000003FF
	v_and_b32_e32 v0, 0x3ff, v0                                // 000000002EF0: 260000FF 000003FF
	v_lshrrev_b32_e32 v3, 6, v0                                // 000000002EF8: 20060086
	v_and_b32_e32 v0, 63, v0                                   // 000000002EFC: 260000BF
	s_mov_b32 s60, s2                                          // 000000002F00: BEBC0002
	s_mov_b32 s2, s3                                           // 000000002F04: BE820003
	s_mov_b32 s3, s60                                          // 000000002F08: BE83003C
	v_readfirstlane_b32 s5, v3                                 // 000000002F0C: 7E0A0503
	s_waitcnt lgkmcnt(0)                                       // 000000002F10: BF8CC07F
	s_and_b32 s51, s51, 0xffff                                 // 000000002F14: 8633FF33 0000FFFF
	s_load_dword s50, s[50:51], 0x0                            // 000000002F1C: C0020C99 00000000
	s_and_b32 s45, s45, 0xffff                                 // 000000002F24: 862DFF2D 0000FFFF
	s_and_b32 s47, s47, 0xffff                                 // 000000002F2C: 862FFF2F 0000FFFF
	s_and_b32 s9, s9, 0xffff                                   // 000000002F34: 8609FF09 0000FFFF
	s_mul_i32 s60, s66, s68                                    // 000000002F3C: 923C4442
	s_mov_b32 s22, s60                                         // 000000002F40: BE96003C
	s_mov_b32 s26, -16                                         // 000000002F44: BE9A00D0
	s_mov_b32 s14, -16                                         // 000000002F48: BE8E00D0
	s_mov_b32 s42, -16                                         // 000000002F4C: BEAA00D0
	s_mov_b32 s30, -16                                         // 000000002F50: BE9E00D0
	s_mov_b32 s34, 0x500                                       // 000000002F54: BEA200FF 00000500
	s_mov_b32 s38, 0x500                                       // 000000002F5C: BEA600FF 00000500
	s_mov_b32 s18, -16                                         // 000000002F64: BE9200D0
	s_mov_b32 s23, 0x20000                                     // 000000002F68: BE9700FF 00020000
	s_mov_b32 s27, 0x20000                                     // 000000002F70: BE9B00FF 00020000
	s_mov_b32 s15, 0x20000                                     // 000000002F78: BE8F00FF 00020000
	s_mov_b32 s43, 0x20000                                     // 000000002F80: BEAB00FF 00020000
	s_mov_b32 s31, 0x20000                                     // 000000002F88: BE9F00FF 00020000
	s_mov_b32 s35, 0x20000                                     // 000000002F90: BEA300FF 00020000
	s_mov_b32 s39, 0x20000                                     // 000000002F98: BEA700FF 00020000
	s_mov_b32 s19, 0x20000                                     // 000000002FA0: BE9300FF 00020000
	s_and_b32 s21, s21, 0xffff                                 // 000000002FA8: 8615FF15 0000FFFF
	s_and_b32 s25, s25, 0xffff                                 // 000000002FB0: 8619FF19 0000FFFF
	s_and_b32 s13, s13, 0xffff                                 // 000000002FB8: 860DFF0D 0000FFFF
	s_and_b32 s41, s41, 0xffff                                 // 000000002FC0: 8629FF29 0000FFFF
	s_and_b32 s29, s29, 0xffff                                 // 000000002FC8: 861DFF1D 0000FFFF
	s_and_b32 s33, s33, 0xffff                                 // 000000002FD0: 8621FF21 0000FFFF
	s_and_b32 s37, s37, 0xffff                                 // 000000002FD8: 8625FF25 0000FFFF
	s_and_b32 s17, s17, 0xffff                                 // 000000002FE0: 8611FF11 0000FFFF
	s_or_b32 s21, s21, 0x40000                                 // 000000002FE8: 8715FF15 00040000
	s_or_b32 s25, s25, 0x40000                                 // 000000002FF0: 8719FF19 00040000
	s_or_b32 s13, s13, 0x40000                                 // 000000002FF8: 870DFF0D 00040000
	s_or_b32 s41, s41, 0x40000                                 // 000000003000: 8729FF29 00040000
	s_or_b32 s29, s29, 0x40000                                 // 000000003008: 871DFF1D 00040000
	s_or_b32 s33, s33, 0x40000                                 // 000000003010: 8721FF21 00040000
	s_or_b32 s37, s37, 0x40000                                 // 000000003018: 8725FF25 00040000
	s_or_b32 s17, s17, 0x40000                                 // 000000003020: 8711FF11 00040000
	v_accvgpr_write_b32 a159, 0                                // 000000003028: D3D9409F 18000080
	v_mov_b32_e32 v231, 0                                      // 000000003030: 7FCE0280
	s_waitcnt lgkmcnt(0)                                       // 000000003034: BF8CC07F
	s_mul_i32 s60, s3, 32                                      // 000000003038: 923CA003
	s_cmp_lt_i32 s60, s50                                      // 00000000303C: BF04323C
	s_cbranch_scc0 label_2703                                  // 000000003040: BF842672
	s_mov_b32 s80, 0                                           // 000000003044: BED00080
	s_mov_b32 s81, s64                                         // 000000003048: BED10040
	s_mul_i32 s60, s3, 4                                       // 00000000304C: 923C8403
	s_add_u32 s46, s60, s46                                    // 000000003050: 802E2E3C
	s_addc_u32 s47, 0, s47                                     // 000000003054: 822F2F80
	s_load_dword s77, s[46:47], 0x0                            // 000000003058: C0021357 00000000
	s_mul_i32 s60, s3, 32                                      // 000000003060: 923CA003
	s_add_u32 s60, s5, s60                                     // 000000003064: 803C3C05
	s_mul_i32 s60, 4, s60                                      // 000000003068: 923C3C84
	s_add_u32 s44, s60, s44                                    // 00000000306C: 802C2C3C
	s_addc_u32 s45, 0, s45                                     // 000000003070: 822D2D80
	s_load_dword s82, s[44:45], 0x0                            // 000000003074: C0021496 00000000
	s_load_dword s83, s[44:45], 0x10                           // 00000000307C: C00214D6 00000010
	s_load_dword s84, s[44:45], 0x20                           // 000000003084: C0021516 00000020
	s_load_dword s85, s[44:45], 0x30                           // 00000000308C: C0021556 00000030
	s_load_dword s86, s[44:45], 0x40                           // 000000003094: C0021596 00000040
	s_load_dword s87, s[44:45], 0x50                           // 00000000309C: C00215D6 00000050
	s_load_dword s88, s[44:45], 0x60                           // 0000000030A4: C0021616 00000060
	s_load_dword s89, s[44:45], 0x70                           // 0000000030AC: C0021656 00000070
	s_waitcnt lgkmcnt(0)                                       // 0000000030B4: BF8CC07F
	v_lshlrev_b32_e32 v42, 2, v0                               // 0000000030B8: 24540082
	s_and_b32 s82, s82, 0xffffff                               // 0000000030BC: 8652FF52 00FFFFFF
	s_mul_i32 s60, s82, s68                                    // 0000000030C4: 923C4452
	v_add_u32_e64 v28, v42, s60                                // 0000000030C8: D134001C 0000792A
	s_and_b32 s83, s83, 0xffffff                               // 0000000030D0: 8653FF53 00FFFFFF
	s_mul_i32 s60, s83, s68                                    // 0000000030D8: 923C4453
	v_add_u32_e64 v29, v42, s60                                // 0000000030DC: D134001D 0000792A
	s_and_b32 s84, s84, 0xffffff                               // 0000000030E4: 8654FF54 00FFFFFF
	s_mul_i32 s60, s84, s68                                    // 0000000030EC: 923C4454
	v_add_u32_e64 v30, v42, s60                                // 0000000030F0: D134001E 0000792A
	s_and_b32 s85, s85, 0xffffff                               // 0000000030F8: 8655FF55 00FFFFFF
	s_mul_i32 s60, s85, s68                                    // 000000003100: 923C4455
	v_add_u32_e64 v31, v42, s60                                // 000000003104: D134001F 0000792A
	s_and_b32 s86, s86, 0xffffff                               // 00000000310C: 8656FF56 00FFFFFF
	s_mul_i32 s60, s86, s68                                    // 000000003114: 923C4456
	v_add_u32_e64 v32, v42, s60                                // 000000003118: D1340020 0000792A
	s_and_b32 s87, s87, 0xffffff                               // 000000003120: 8657FF57 00FFFFFF
	s_mul_i32 s60, s87, s68                                    // 000000003128: 923C4457
	v_add_u32_e64 v33, v42, s60                                // 00000000312C: D1340021 0000792A
	s_and_b32 s88, s88, 0xffffff                               // 000000003134: 8658FF58 00FFFFFF
	s_mul_i32 s60, s88, s68                                    // 00000000313C: 923C4458
	v_add_u32_e64 v34, v42, s60                                // 000000003140: D1340022 0000792A
	s_and_b32 s89, s89, 0xffffff                               // 000000003148: 8659FF59 00FFFFFF
	s_mul_i32 s60, s89, s68                                    // 000000003150: 923C4459
	v_add_u32_e64 v35, v42, s60                                // 000000003154: D1340023 0000792A
	v_lshlrev_b32_e32 v42, 2, v0                               // 00000000315C: 24540082
	s_mul_i32 s60, s82, s71                                    // 000000003160: 923C4752
	v_add_u32_e64 v80, v42, s60                                // 000000003164: D1340050 0000792A
	v_mov_b32_e32 v81, 0                                       // 00000000316C: 7EA20280
	s_mul_i32 s60, s83, s71                                    // 000000003170: 923C4753
	v_add_u32_e64 v82, v42, s60                                // 000000003174: D1340052 0000792A
	v_mov_b32_e32 v83, 0                                       // 00000000317C: 7EA60280
	s_mul_i32 s60, s84, s71                                    // 000000003180: 923C4754
	v_add_u32_e64 v84, v42, s60                                // 000000003184: D1340054 0000792A
	v_mov_b32_e32 v85, 0                                       // 00000000318C: 7EAA0280
	s_mul_i32 s60, s85, s71                                    // 000000003190: 923C4755
	v_add_u32_e64 v86, v42, s60                                // 000000003194: D1340056 0000792A
	v_mov_b32_e32 v87, 0                                       // 00000000319C: 7EAE0280
	s_mul_i32 s60, s86, s71                                    // 0000000031A0: 923C4756
	v_add_u32_e64 v88, v42, s60                                // 0000000031A4: D1340058 0000792A
	v_mov_b32_e32 v89, 0                                       // 0000000031AC: 7EB20280
	s_mul_i32 s60, s87, s71                                    // 0000000031B0: 923C4757
	v_add_u32_e64 v90, v42, s60                                // 0000000031B4: D134005A 0000792A
	v_mov_b32_e32 v91, 0                                       // 0000000031BC: 7EB60280
	s_mul_i32 s60, s88, s71                                    // 0000000031C0: 923C4758
	v_add_u32_e64 v92, v42, s60                                // 0000000031C4: D134005C 0000792A
	v_mov_b32_e32 v93, 0                                       // 0000000031CC: 7EBA0280
	s_mul_i32 s60, s89, s71                                    // 0000000031D0: 923C4759
	v_add_u32_e64 v94, v42, s60                                // 0000000031D4: D134005E 0000792A
	v_mov_b32_e32 v95, 0                                       // 0000000031DC: 7EBE0280
	s_mul_i32 s60, s5, 0x208                                   // 0000000031E0: 923CFF05 00000208
	s_add_u32 s50, 0x800, s60                                  // 0000000031E8: 80323CFF 00000800
	s_add_u32 s51, 0x4100, s50                                 // 0000000031F0: 803332FF 00004100
	v_lshrrev_b32_e32 v42, 4, v0                               // 0000000031F8: 20540084
	v_lshlrev_b32_e32 v43, 1, v42                              // 0000000031FC: 24565481
	v_and_b32_e32 v42, 15, v0                                  // 000000003200: 2654008F
	v_mul_i32_i24_e32 v42, 0x82, v42                           // 000000003204: 0C5454FF 00000082
	v_add_u32_e32 v43, v42, v43                                // 00000000320C: 6856572A
	v_lshlrev_b32_e32 v2, 2, v43                               // 000000003210: 24045682
	s_mul_i32 s60, s5, 32                                      // 000000003214: 923CA005
	v_add_u32_e32 v2, s60, v2                                  // 000000003218: 6804043C
	v_lshlrev_b32_e32 v42, 3, v0                               // 00000000321C: 24540083
	s_mul_i32 s60, 0x200, s5                                   // 000000003220: 923C05FF 00000200
	v_add_u32_e32 v3, s60, v42                                 // 000000003228: 6806543C
	v_and_b32_e32 v42, 15, v0                                  // 00000000322C: 2654008F
	v_lshlrev_b32_e32 v4, 3, v42                               // 000000003230: 24085483
	v_lshrrev_b32_e32 v42, 5, v0                               // 000000003234: 20540085
	v_lshlrev_b32_e32 v43, 5, v42                              // 000000003238: 24565485
	v_and_b32_e32 v42, 31, v0                                  // 00000000323C: 2654009F
	v_lshrrev_b32_e32 v44, 4, v42                              // 000000003240: 20585484
	v_add_u32_e32 v43, v44, v43                                // 000000003244: 6856572C
	v_and_b32_e32 v42, 15, v0                                  // 000000003248: 2654008F
	v_lshlrev_b32_e32 v42, 1, v42                              // 00000000324C: 24545481
	v_add_u32_e32 v43, v42, v43                                // 000000003250: 6856572A
	v_lshlrev_b32_e32 v42, 2, v43                              // 000000003254: 24545682
	s_mul_i32 s60, 0x100, s5                                   // 000000003258: 923C05FF 00000100
	v_add_u32_e64 v12, v42, s60                                // 000000003260: D134000C 0000792A
	v_lshrrev_b32_e32 v42, 4, v0                               // 000000003268: 20540084
	v_lshlrev_b32_e32 v43, 6, v42                              // 00000000326C: 24565486
	v_and_b32_e32 v42, 15, v0                                  // 000000003270: 2654008F
	v_lshlrev_b32_e32 v42, 1, v42                              // 000000003274: 24545481
	v_add_u32_e32 v43, v42, v43                                // 000000003278: 6856572A
	v_lshlrev_b32_e32 v13, 2, v43                              // 00000000327C: 241A5682
	s_mul_i32 s60, s2, 0x140                                   // 000000003280: 923CFF02 00000140
	s_mul_i32 s60, s60, s69                                    // 000000003288: 923C453C
	s_mul_i32 s61, s77, s72                                    // 00000000328C: 923D484D
	s_add_u32 s60, s61, s60                                    // 000000003290: 803C3C3D
	s_add_u32 s24, s60, s24                                    // 000000003294: 8018183C
	s_addc_u32 s25, 0, s25                                     // 000000003298: 82191980
	s_mul_i32 s60, s5, 16                                      // 00000000329C: 923C9005
	s_mul_i32 s60, s60, s69                                    // 0000000032A0: 923C453C
	v_lshlrev_b32_e32 v36, 4, v0                               // 0000000032A4: 24480084
	v_add_u32_e32 v36, s60, v36                                // 0000000032A8: 6848483C
	s_mul_i32 s60, 64, s69                                     // 0000000032AC: 923C45C0
	v_add_u32_e32 v37, s60, v36                                // 0000000032B0: 684A483C
	v_add_u32_e32 v38, s60, v37                                // 0000000032B4: 684C4A3C
	v_add_u32_e32 v39, s60, v38                                // 0000000032B8: 684E4C3C
	v_add_u32_e32 v40, s60, v39                                // 0000000032BC: 68504E3C
	s_mov_b32 s92, s24                                         // 0000000032C0: BEDC0018
	s_mov_b32 s93, s25                                         // 0000000032C4: BEDD0019
	s_mov_b32 s94, s26                                         // 0000000032C8: BEDE001A
	s_mov_b32 s95, s27                                         // 0000000032CC: BEDF001B
	s_mul_i32 s60, s69, s65                                    // 0000000032D0: 923C4145
	s_add_u32 s92, s60, s92                                    // 0000000032D4: 805C5C3C
	s_addc_u32 s93, 0, s93                                     // 0000000032D8: 825D5D80
	s_mul_i32 s60, s2, 0x1400                                  // 0000000032DC: 923CFF02 00001400
	s_mul_i32 s61, s77, s73                                    // 0000000032E4: 923D494D
	s_add_u32 s60, s61, s60                                    // 0000000032E8: 803C3C3D
	s_add_u32 s12, s60, s12                                    // 0000000032EC: 800C0C3C
	s_addc_u32 s13, 0, s13                                     // 0000000032F0: 820D0D80
	s_mul_i32 s60, s70, 0x100                                  // 0000000032F4: 923CFF46 00000100
	s_mov_b32 s78, 0x400                                       // 0000000032FC: BECE00FF 00000400
	s_mul_i32 s61, s78, 4                                      // 000000003304: 923D844E
	s_sub_u32 s56, s60, s61                                    // 000000003308: 80B83D3C
	s_mul_i32 s60, s3, 32                                      // 00000000330C: 923CA003
	s_mul_i32 s60, 4, s60                                      // 000000003310: 923C3C84
	s_add_u32 s40, s60, s40                                    // 000000003314: 8028283C
	s_addc_u32 s41, 0, s41                                     // 000000003318: 82292980
	v_and_b32_e32 v42, 15, v0                                  // 00000000331C: 2654008F
	v_lshlrev_b32_e32 v8, 2, v42                               // 000000003320: 24105482
	v_add_u32_e32 v9, 64, v8                                   // 000000003324: 681210C0
	v_lshrrev_b32_e32 v42, 4, v0                               // 000000003328: 20540084
	v_lshlrev_b32_e32 v43, 2, v42                              // 00000000332C: 24565482
	v_and_b32_e32 v42, 15, v0                                  // 000000003330: 2654008F
	v_lshrrev_b32_e32 v44, 2, v42                              // 000000003334: 20585482
	v_lshlrev_b32_e32 v44, 6, v44                              // 000000003338: 24585886
	v_add_u32_e32 v43, v44, v43                                // 00000000333C: 6856572C
	v_and_b32_e32 v42, 3, v0                                   // 000000003340: 26540083
	v_add_u32_e32 v43, v42, v43                                // 000000003344: 6856572A
	v_lshlrev_b32_e32 v10, 2, v43                              // 000000003348: 24145682
	v_add_u32_e32 v11, 0x400, v10                              // 00000000334C: 681614FF 00000400
	s_mul_i32 s60, s5, 16                                      // 000000003354: 923C9005
	s_mul_i32 s60, s60, 4                                      // 000000003358: 923C843C
	v_add_u32_e32 v10, s60, v10                                // 00000000335C: 6814143C
	v_add_u32_e32 v11, s60, v11                                // 000000003360: 6816163C
	v_mov_b32_e32 v5, v10                                      // 000000003364: 7E0A030A
	v_mov_b32_e32 v6, v10                                      // 000000003368: 7E0C030A
	s_mul_i32 s60, s2, 0x140                                   // 00000000336C: 923CFF02 00000140
	s_mul_i32 s60, s60, 4                                      // 000000003374: 923C843C
	s_mul_i32 s61, s77, s74                                    // 000000003378: 923D4A4D
	s_add_u32 s61, s61, s60                                    // 00000000337C: 803D3C3D
	s_mul_i32 s62, s77, s76                                    // 000000003380: 923E4C4D
	s_add_u32 s62, s62, s60                                    // 000000003384: 803E3C3E
	s_add_u32 s32, s61, s32                                    // 000000003388: 8020203D
	s_addc_u32 s33, 0, s33                                     // 00000000338C: 82212180
	s_add_u32 s36, s62, s36                                    // 000000003390: 8024243E
	s_addc_u32 s37, 0, s37                                     // 000000003394: 82252580
	s_mul_i32 s60, s77, s75                                    // 000000003398: 923C4B4D
	s_add_u32 s16, s60, s16                                    // 00000000339C: 8010103C
	s_addc_u32 s17, 0, s17                                     // 0000000033A0: 82111180
	s_add_u32 s28, s60, s28                                    // 0000000033A4: 801C1C3C
	s_addc_u32 s29, 0, s29                                     // 0000000033A8: 821D1D80
	s_mov_b32 s57, 0x200                                       // 0000000033AC: BEB900FF 00000200
	s_mov_b32 s58, 0x1000                                      // 0000000033B4: BEBA00FF 00001000
	s_mov_b32 s79, 0x400                                       // 0000000033BC: BECF00FF 00000400
	s_mov_b32 s91, 0x400                                       // 0000000033C4: BEDB00FF 00000400
	s_mov_b32 s59, 0                                           // 0000000033CC: BEBB0080
	s_mov_b32 s90, s58                                         // 0000000033D0: BEDA003A
	s_mov_b32 s52, 0x7060302                                   // 0000000033D4: BEB400FF 07060302
	s_mov_b32 s53, 0x400                                       // 0000000033DC: BEB500FF 00000400
	s_mov_b32 s54, 0x40100                                     // 0000000033E4: BEB600FF 00040100
	s_mov_b32 s55, 0x4020100                                   // 0000000033EC: BEB700FF 04020100
	s_mov_b32 s6, 0x3fb8aa3b                                   // 0000000033F4: BE8600FF 3FB8AA3B
	s_mov_b32 s7, 0x3fb8aa3b                                   // 0000000033FC: BE8700FF 3FB8AA3B
	s_mov_b32 s3, 0xbd92220c                                   // 000000003404: BE8300FF BD92220C
	s_mov_b32 s4, 0xbd92220c                                   // 00000000340C: BE8400FF BD92220C
	s_mov_b32 m0, s50                                          // 000000003414: BEFC0032
	v_mov_b32_e32 v54, 0xbfcc4231                              // 000000003418: 7E6C02FF BFCC4231
	v_mov_b32_e32 v55, 0xbfcc4231                              // 000000003420: 7E6E02FF BFCC4231
	v_mov_b32_e32 v51, 0xffff0000                              // 000000003428: 7E6602FF FFFF0000
	v_mov_b32_e32 v52, 0x7fff0000                              // 000000003430: 7E6802FF 7FFF0000
	v_mov_b32_e32 v53, 0x7fff                                  // 000000003438: 7E6A02FF 00007FFF
	buffer_load_dword v20, v8, s[40:43], 0 offen               // 000000003440: E0501000 800A1408
	buffer_load_dword v21, v9, s[40:43], 0 offen               // 000000003448: E0501000 800A1509
	buffer_load_dword v16, v10, s[32:35], 0 offen              // 000000003450: E0501000 8008100A
	buffer_load_dword v17, v11, s[32:35], 0 offen              // 000000003458: E0501000 8008110B
	s_mul_i32 s60, 4, s65                                      // 000000003460: 923C4184
	s_add_u32 s32, s60, s32                                    // 000000003464: 8020203C
	s_addc_u32 s33, 0, s33                                     // 000000003468: 82212180
	buffer_load_dword v8, v10, s[32:35], 0 offen               // 00000000346C: E0501000 8008080A
	buffer_load_dword v9, v11, s[32:35], 0 offen               // 000000003474: E0501000 8008090B
	buffer_load_dword v18, v10, s[36:39], 0 offen              // 00000000347C: E0501000 8009120A
	buffer_load_dword v19, v11, s[36:39], 0 offen              // 000000003484: E0501000 8009130B
	buffer_load_dword v14, v6, s[28:31], 0 offen               // 00000000348C: E0501000 80070E06
	s_add_u32 s28, s91, s28                                    // 000000003494: 801C1C5B
	s_addc_u32 s29, 0, s29                                     // 000000003498: 821D1D80
	buffer_load_dword v28, s[20:23], 0 offen lds               // 00000000349C: E0511000 8005001C
	buffer_load_dword v28, s[20:23], 0 offen offset:256 lds    // 0000000034A4: E0511100 8005001C
	s_add_u32 m0, 0x820, s50                                   // 0000000034AC: 807C32FF 00000820
	buffer_load_dword v29, s[20:23], 0 offen lds               // 0000000034B4: E0511000 8005001D
	buffer_load_dword v29, s[20:23], 0 offen offset:256 lds    // 0000000034BC: E0511100 8005001D
	s_add_u32 m0, 0x1040, s50                                  // 0000000034C4: 807C32FF 00001040
	buffer_load_dword v30, s[20:23], 0 offen lds               // 0000000034CC: E0511000 8005001E
	buffer_load_dword v30, s[20:23], 0 offen offset:256 lds    // 0000000034D4: E0511100 8005001E
	s_add_u32 m0, 0x1860, s50                                  // 0000000034DC: 807C32FF 00001860
	buffer_load_dword v31, s[20:23], 0 offen lds               // 0000000034E4: E0511000 8005001F
	buffer_load_dword v31, s[20:23], 0 offen offset:256 lds    // 0000000034EC: E0511100 8005001F
	s_add_u32 m0, 0x2080, s50                                  // 0000000034F4: 807C32FF 00002080
	buffer_load_dword v32, s[20:23], 0 offen lds               // 0000000034FC: E0511000 80050020
	buffer_load_dword v32, s[20:23], 0 offen offset:256 lds    // 000000003504: E0511100 80050020
	s_add_u32 m0, 0x28a0, s50                                  // 00000000350C: 807C32FF 000028A0
	buffer_load_dword v33, s[20:23], 0 offen lds               // 000000003514: E0511000 80050021
	buffer_load_dword v33, s[20:23], 0 offen offset:256 lds    // 00000000351C: E0511100 80050021
	s_add_u32 m0, 0x30c0, s50                                  // 000000003524: 807C32FF 000030C0
	buffer_load_dword v34, s[20:23], 0 offen lds               // 00000000352C: E0511000 80050022
	buffer_load_dword v34, s[20:23], 0 offen offset:256 lds    // 000000003534: E0511100 80050022
	s_add_u32 m0, 0x38e0, s50                                  // 00000000353C: 807C32FF 000038E0
	buffer_load_dword v35, s[20:23], 0 offen lds               // 000000003544: E0511000 80050023
	buffer_load_dword v35, s[20:23], 0 offen offset:256 lds    // 00000000354C: E0511100 80050023
	s_add_u32 m0, 0, s51                                       // 000000003554: 807C3380
	s_add_u32 s20, s57, s20                                    // 000000003558: 80141439
	s_addc_u32 s21, 0, s21                                     // 00000000355C: 82151580
	buffer_load_dwordx4 a[0:3], v36, s[24:27], 0 offen         // 000000003560: E05C1000 80860024
	buffer_load_dwordx4 a[4:7], v36, s[24:27], 0 offen offset:1024// 000000003568: E05C1400 80860424
	buffer_load_dwordx4 a[8:11], v36, s[24:27], 0 offen offset:2048// 000000003570: E05C1800 80860824
	buffer_load_dwordx4 a[12:15], v36, s[24:27], 0 offen offset:3072// 000000003578: E05C1C00 80860C24
	buffer_load_dwordx4 a[16:19], v37, s[24:27], 0 offen       // 000000003580: E05C1000 80861025
	buffer_load_dwordx4 a[20:23], v37, s[24:27], 0 offen offset:1024// 000000003588: E05C1400 80861425
	buffer_load_dwordx4 a[24:27], v37, s[24:27], 0 offen offset:2048// 000000003590: E05C1800 80861825
	buffer_load_dwordx4 a[28:31], v37, s[24:27], 0 offen offset:3072// 000000003598: E05C1C00 80861C25
	buffer_load_dwordx4 a[32:35], v38, s[24:27], 0 offen       // 0000000035A0: E05C1000 80862026
	buffer_load_dwordx4 a[36:39], v38, s[24:27], 0 offen offset:1024// 0000000035A8: E05C1400 80862426
	buffer_load_dwordx4 a[40:43], v38, s[24:27], 0 offen offset:2048// 0000000035B0: E05C1800 80862826
	buffer_load_dwordx4 a[44:47], v38, s[24:27], 0 offen offset:3072// 0000000035B8: E05C1C00 80862C26
	buffer_load_dwordx4 a[48:51], v39, s[24:27], 0 offen       // 0000000035C0: E05C1000 80863027
	buffer_load_dwordx4 a[52:55], v39, s[24:27], 0 offen offset:1024// 0000000035C8: E05C1400 80863427
	buffer_load_dwordx4 a[56:59], v39, s[24:27], 0 offen offset:2048// 0000000035D0: E05C1800 80863827
	buffer_load_dwordx4 a[60:63], v39, s[24:27], 0 offen offset:3072// 0000000035D8: E05C1C00 80863C27
	buffer_load_dwordx4 a[64:67], v40, s[24:27], 0 offen       // 0000000035E0: E05C1000 80864028
	buffer_load_dwordx4 a[68:71], v40, s[24:27], 0 offen offset:1024// 0000000035E8: E05C1400 80864428
	buffer_load_dwordx4 a[72:75], v40, s[24:27], 0 offen offset:2048// 0000000035F0: E05C1800 80864828
	buffer_load_dwordx4 a[76:79], v40, s[24:27], 0 offen offset:3072// 0000000035F8: E05C1C00 80864C28
	s_add_u32 s24, s58, s24                                    // 000000003600: 8018183A
	s_addc_u32 s25, 0, s25                                     // 000000003604: 82191980
	v_mov_b32_e32 v128, 0                                      // 000000003608: 7F000280
	v_mov_b32_e32 v64, 0                                       // 00000000360C: 7E800280
	v_mov_b32_e32 v129, 0                                      // 000000003610: 7F020280
	v_mov_b32_e32 v65, 0                                       // 000000003614: 7E820280
	v_mov_b32_e32 v130, 0                                      // 000000003618: 7F040280
	v_mov_b32_e32 v66, 0                                       // 00000000361C: 7E840280
	v_mov_b32_e32 v131, 0                                      // 000000003620: 7F060280
	v_mov_b32_e32 v67, 0                                       // 000000003624: 7E860280
	v_mov_b32_e32 v132, 0                                      // 000000003628: 7F080280
	v_mov_b32_e32 v68, 0                                       // 00000000362C: 7E880280
	v_mov_b32_e32 v133, 0                                      // 000000003630: 7F0A0280
	v_mov_b32_e32 v69, 0                                       // 000000003634: 7E8A0280
	v_mov_b32_e32 v134, 0                                      // 000000003638: 7F0C0280
	v_mov_b32_e32 v70, 0                                       // 00000000363C: 7E8C0280
	v_mov_b32_e32 v135, 0                                      // 000000003640: 7F0E0280
	v_mov_b32_e32 v71, 0                                       // 000000003644: 7E8E0280
	v_mov_b32_e32 v136, 0                                      // 000000003648: 7F100280
	v_mov_b32_e32 v72, 0                                       // 00000000364C: 7E900280
	v_mov_b32_e32 v137, 0                                      // 000000003650: 7F120280
	v_mov_b32_e32 v73, 0                                       // 000000003654: 7E920280
	v_mov_b32_e32 v138, 0                                      // 000000003658: 7F140280
	v_mov_b32_e32 v74, 0                                       // 00000000365C: 7E940280
	v_mov_b32_e32 v139, 0                                      // 000000003660: 7F160280
	v_mov_b32_e32 v75, 0                                       // 000000003664: 7E960280
	v_mov_b32_e32 v140, 0                                      // 000000003668: 7F180280
	v_mov_b32_e32 v76, 0                                       // 00000000366C: 7E980280
	v_mov_b32_e32 v141, 0                                      // 000000003670: 7F1A0280
	v_mov_b32_e32 v77, 0                                       // 000000003674: 7E9A0280
	v_mov_b32_e32 v142, 0                                      // 000000003678: 7F1C0280
	v_mov_b32_e32 v78, 0                                       // 00000000367C: 7E9C0280
	v_mov_b32_e32 v143, 0                                      // 000000003680: 7F1E0280
	v_mov_b32_e32 v79, 0                                       // 000000003684: 7E9E0280
	v_mov_b32_e32 v144, 0                                      // 000000003688: 7F200280
	v_mov_b32_e32 v80, 0                                       // 00000000368C: 7EA00280
	v_mov_b32_e32 v145, 0                                      // 000000003690: 7F220280
	v_mov_b32_e32 v81, 0                                       // 000000003694: 7EA20280
	v_mov_b32_e32 v146, 0                                      // 000000003698: 7F240280
	v_mov_b32_e32 v82, 0                                       // 00000000369C: 7EA40280
	v_mov_b32_e32 v147, 0                                      // 0000000036A0: 7F260280
	v_mov_b32_e32 v83, 0                                       // 0000000036A4: 7EA60280
	v_mov_b32_e32 v148, 0                                      // 0000000036A8: 7F280280
	v_mov_b32_e32 v84, 0                                       // 0000000036AC: 7EA80280
	v_mov_b32_e32 v149, 0                                      // 0000000036B0: 7F2A0280
	v_mov_b32_e32 v85, 0                                       // 0000000036B4: 7EAA0280
	v_mov_b32_e32 v150, 0                                      // 0000000036B8: 7F2C0280
	v_mov_b32_e32 v86, 0                                       // 0000000036BC: 7EAC0280
	v_mov_b32_e32 v151, 0                                      // 0000000036C0: 7F2E0280
	v_mov_b32_e32 v87, 0                                       // 0000000036C4: 7EAE0280
	v_mov_b32_e32 v152, 0                                      // 0000000036C8: 7F300280
	v_mov_b32_e32 v88, 0                                       // 0000000036CC: 7EB00280
	v_mov_b32_e32 v153, 0                                      // 0000000036D0: 7F320280
	v_mov_b32_e32 v89, 0                                       // 0000000036D4: 7EB20280
	v_mov_b32_e32 v154, 0                                      // 0000000036D8: 7F340280
	v_mov_b32_e32 v90, 0                                       // 0000000036DC: 7EB40280
	v_mov_b32_e32 v155, 0                                      // 0000000036E0: 7F360280
	v_mov_b32_e32 v91, 0                                       // 0000000036E4: 7EB60280
	v_mov_b32_e32 v156, 0                                      // 0000000036E8: 7F380280
	v_mov_b32_e32 v92, 0                                       // 0000000036EC: 7EB80280
	v_mov_b32_e32 v157, 0                                      // 0000000036F0: 7F3A0280
	v_mov_b32_e32 v93, 0                                       // 0000000036F4: 7EBA0280
	v_mov_b32_e32 v158, 0                                      // 0000000036F8: 7F3C0280
	v_mov_b32_e32 v94, 0                                       // 0000000036FC: 7EBC0280
	v_mov_b32_e32 v159, 0                                      // 000000003700: 7F3E0280
	v_mov_b32_e32 v95, 0                                       // 000000003704: 7EBE0280
	v_mov_b32_e32 v160, 0                                      // 000000003708: 7F400280
	v_mov_b32_e32 v96, 0                                       // 00000000370C: 7EC00280
	v_mov_b32_e32 v161, 0                                      // 000000003710: 7F420280
	v_mov_b32_e32 v97, 0                                       // 000000003714: 7EC20280
	v_mov_b32_e32 v162, 0                                      // 000000003718: 7F440280
	v_mov_b32_e32 v98, 0                                       // 00000000371C: 7EC40280
	v_mov_b32_e32 v163, 0                                      // 000000003720: 7F460280
	v_mov_b32_e32 v99, 0                                       // 000000003724: 7EC60280
	v_mov_b32_e32 v164, 0                                      // 000000003728: 7F480280
	v_mov_b32_e32 v100, 0                                      // 00000000372C: 7EC80280
	v_mov_b32_e32 v165, 0                                      // 000000003730: 7F4A0280
	v_mov_b32_e32 v101, 0                                      // 000000003734: 7ECA0280
	v_mov_b32_e32 v166, 0                                      // 000000003738: 7F4C0280
	v_mov_b32_e32 v102, 0                                      // 00000000373C: 7ECC0280
	v_mov_b32_e32 v167, 0                                      // 000000003740: 7F4E0280
	v_mov_b32_e32 v103, 0                                      // 000000003744: 7ECE0280
	s_waitcnt vmcnt(20)                                        // 000000003748: BF8C4F74
	s_barrier                                                  // 00000000374C: BF8A0000
	ds_read_b64 v[168:169], v2 offset:2048                     // 000000003750: D8EC0800 A8000002
	ds_read_b64 v[172:173], v2 offset:10368                    // 000000003758: D8EC2880 AC000002
	ds_read_b64 v[176:177], v2 offset:2176                     // 000000003760: D8EC0880 B0000002
	ds_read_b64 v[180:181], v2 offset:10496                    // 000000003768: D8EC2900 B4000002
	ds_read_b64 v[184:185], v2 offset:2304                     // 000000003770: D8EC0900 B8000002
	ds_read_b64 v[188:189], v2 offset:10624                    // 000000003778: D8EC2980 BC000002
	ds_read_b64 v[192:193], v2 offset:2432                     // 000000003780: D8EC0980 C0000002
	ds_read_b64 v[196:197], v2 offset:10752                    // 000000003788: D8EC2A00 C4000002
	s_waitcnt lgkmcnt(0)                                       // 000000003790: BF8CC07F
	v_and_b32_e32 v171, 0xffff0000, v169                       // 000000003794: 275752FF FFFF0000
	v_lshlrev_b32_e32 v170, 16, v169                           // 00000000379C: 25555290
	v_and_b32_e32 v169, 0xffff0000, v168                       // 0000000037A0: 275350FF FFFF0000
	v_lshlrev_b32_e32 v168, 16, v168                           // 0000000037A8: 25515090
	v_and_b32_e32 v175, 0xffff0000, v173                       // 0000000037AC: 275F5AFF FFFF0000
	v_lshlrev_b32_e32 v174, 16, v173                           // 0000000037B4: 255D5A90
	v_and_b32_e32 v173, 0xffff0000, v172                       // 0000000037B8: 275B58FF FFFF0000
	v_lshlrev_b32_e32 v172, 16, v172                           // 0000000037C0: 25595890
	v_and_b32_e32 v179, 0xffff0000, v177                       // 0000000037C4: 276762FF FFFF0000
	v_lshlrev_b32_e32 v178, 16, v177                           // 0000000037CC: 25656290
	v_and_b32_e32 v177, 0xffff0000, v176                       // 0000000037D0: 276360FF FFFF0000
	v_lshlrev_b32_e32 v176, 16, v176                           // 0000000037D8: 25616090
	v_and_b32_e32 v183, 0xffff0000, v181                       // 0000000037DC: 276F6AFF FFFF0000
	v_lshlrev_b32_e32 v182, 16, v181                           // 0000000037E4: 256D6A90
	v_and_b32_e32 v181, 0xffff0000, v180                       // 0000000037E8: 276B68FF FFFF0000
	v_lshlrev_b32_e32 v180, 16, v180                           // 0000000037F0: 25696890
	v_and_b32_e32 v187, 0xffff0000, v185                       // 0000000037F4: 277772FF FFFF0000
	v_lshlrev_b32_e32 v186, 16, v185                           // 0000000037FC: 25757290
	v_and_b32_e32 v185, 0xffff0000, v184                       // 000000003800: 277370FF FFFF0000
	v_lshlrev_b32_e32 v184, 16, v184                           // 000000003808: 25717090
	v_and_b32_e32 v191, 0xffff0000, v189                       // 00000000380C: 277F7AFF FFFF0000
	v_lshlrev_b32_e32 v190, 16, v189                           // 000000003814: 257D7A90
	v_and_b32_e32 v189, 0xffff0000, v188                       // 000000003818: 277B78FF FFFF0000
	v_lshlrev_b32_e32 v188, 16, v188                           // 000000003820: 25797890
	v_and_b32_e32 v195, 0xffff0000, v193                       // 000000003824: 278782FF FFFF0000
	v_lshlrev_b32_e32 v194, 16, v193                           // 00000000382C: 25858290
	v_and_b32_e32 v193, 0xffff0000, v192                       // 000000003830: 278380FF FFFF0000
	v_lshlrev_b32_e32 v192, 16, v192                           // 000000003838: 25818090
	v_and_b32_e32 v199, 0xffff0000, v197                       // 00000000383C: 278F8AFF FFFF0000
	v_lshlrev_b32_e32 v198, 16, v197                           // 000000003844: 258D8A90
	v_and_b32_e32 v197, 0xffff0000, v196                       // 000000003848: 278B88FF FFFF0000
	v_lshlrev_b32_e32 v196, 16, v196                           // 000000003850: 25898890
	v_mul_f32_dpp v168, v14, v168 row_newbcast:0 row_mask:0xf bank_mask:0xf// 000000003854: 0B5150FA FF01500E
	v_mul_f32_dpp v169, v14, v169 row_newbcast:1 row_mask:0xf bank_mask:0xf// 00000000385C: 0B5352FA FF01510E
	v_mul_f32_dpp v170, v14, v170 row_newbcast:2 row_mask:0xf bank_mask:0xf// 000000003864: 0B5554FA FF01520E
	v_mul_f32_dpp v171, v14, v171 row_newbcast:3 row_mask:0xf bank_mask:0xf// 00000000386C: 0B5756FA FF01530E
	v_mul_f32_dpp v172, v14, v172 row_newbcast:0 row_mask:0xf bank_mask:0xf// 000000003874: 0B5958FA FF01500E
	v_mul_f32_dpp v173, v14, v173 row_newbcast:1 row_mask:0xf bank_mask:0xf// 00000000387C: 0B5B5AFA FF01510E
	v_mul_f32_dpp v174, v14, v174 row_newbcast:2 row_mask:0xf bank_mask:0xf// 000000003884: 0B5D5CFA FF01520E
	v_mul_f32_dpp v175, v14, v175 row_newbcast:3 row_mask:0xf bank_mask:0xf// 00000000388C: 0B5F5EFA FF01530E
	v_mul_f32_dpp v176, v14, v176 row_newbcast:4 row_mask:0xf bank_mask:0xf// 000000003894: 0B6160FA FF01540E
	v_mul_f32_dpp v177, v14, v177 row_newbcast:5 row_mask:0xf bank_mask:0xf// 00000000389C: 0B6362FA FF01550E
	v_mul_f32_dpp v178, v14, v178 row_newbcast:6 row_mask:0xf bank_mask:0xf// 0000000038A4: 0B6564FA FF01560E
	v_mul_f32_dpp v179, v14, v179 row_newbcast:7 row_mask:0xf bank_mask:0xf// 0000000038AC: 0B6766FA FF01570E
	v_mul_f32_dpp v180, v14, v180 row_newbcast:4 row_mask:0xf bank_mask:0xf// 0000000038B4: 0B6968FA FF01540E
	v_mul_f32_dpp v181, v14, v181 row_newbcast:5 row_mask:0xf bank_mask:0xf// 0000000038BC: 0B6B6AFA FF01550E
	v_mul_f32_dpp v182, v14, v182 row_newbcast:6 row_mask:0xf bank_mask:0xf// 0000000038C4: 0B6D6CFA FF01560E
	v_mul_f32_dpp v183, v14, v183 row_newbcast:7 row_mask:0xf bank_mask:0xf// 0000000038CC: 0B6F6EFA FF01570E
	v_mul_f32_dpp v184, v14, v184 row_newbcast:8 row_mask:0xf bank_mask:0xf// 0000000038D4: 0B7170FA FF01580E
	v_mul_f32_dpp v185, v14, v185 row_newbcast:9 row_mask:0xf bank_mask:0xf// 0000000038DC: 0B7372FA FF01590E
	v_mul_f32_dpp v186, v14, v186 row_newbcast:10 row_mask:0xf bank_mask:0xf// 0000000038E4: 0B7574FA FF015A0E
	v_mul_f32_dpp v187, v14, v187 row_newbcast:11 row_mask:0xf bank_mask:0xf// 0000000038EC: 0B7776FA FF015B0E
	v_mul_f32_dpp v188, v14, v188 row_newbcast:8 row_mask:0xf bank_mask:0xf// 0000000038F4: 0B7978FA FF01580E
	v_mul_f32_dpp v189, v14, v189 row_newbcast:9 row_mask:0xf bank_mask:0xf// 0000000038FC: 0B7B7AFA FF01590E
	v_mul_f32_dpp v190, v14, v190 row_newbcast:10 row_mask:0xf bank_mask:0xf// 000000003904: 0B7D7CFA FF015A0E
	v_mul_f32_dpp v191, v14, v191 row_newbcast:11 row_mask:0xf bank_mask:0xf// 00000000390C: 0B7F7EFA FF015B0E
	v_mul_f32_dpp v192, v14, v192 row_newbcast:12 row_mask:0xf bank_mask:0xf// 000000003914: 0B8180FA FF015C0E
	v_mul_f32_dpp v193, v14, v193 row_newbcast:13 row_mask:0xf bank_mask:0xf// 00000000391C: 0B8382FA FF015D0E
	v_mul_f32_dpp v194, v14, v194 row_newbcast:14 row_mask:0xf bank_mask:0xf// 000000003924: 0B8584FA FF015E0E
	v_mul_f32_dpp v195, v14, v195 row_newbcast:15 row_mask:0xf bank_mask:0xf// 00000000392C: 0B8786FA FF015F0E
	v_mul_f32_dpp v196, v14, v196 row_newbcast:12 row_mask:0xf bank_mask:0xf// 000000003934: 0B8988FA FF015C0E
	v_mul_f32_dpp v197, v14, v197 row_newbcast:13 row_mask:0xf bank_mask:0xf// 00000000393C: 0B8B8AFA FF015D0E
	v_mul_f32_dpp v198, v14, v198 row_newbcast:14 row_mask:0xf bank_mask:0xf// 000000003944: 0B8D8CFA FF015E0E
	v_mul_f32_dpp v199, v14, v199 row_newbcast:15 row_mask:0xf bank_mask:0xf// 00000000394C: 0B8F8EFA FF015F0E
	v_mov_b32_e32 v46, 0x358637bd                              // 000000003954: 7E5C02FF 358637BD
	v_mov_b32_e32 v47, 0x358637bd                              // 00000000395C: 7E5E02FF 358637BD
	v_max3_f32 v46, |v168|, |v169|, v46                        // 000000003964: D1D3032E 04BB53A8
	v_max3_f32 v46, |v170|, |v171|, v46                        // 00000000396C: D1D3032E 04BB57AA
	v_max3_f32 v47, |v172|, |v173|, v47                        // 000000003974: D1D3032F 04BF5BAC
	v_max3_f32 v47, |v174|, |v175|, v47                        // 00000000397C: D1D3032F 04BF5FAE
	v_max3_f32 v46, |v176|, |v177|, v46                        // 000000003984: D1D3032E 04BB63B0
	v_max3_f32 v46, |v178|, |v179|, v46                        // 00000000398C: D1D3032E 04BB67B2
	v_max3_f32 v47, |v180|, |v181|, v47                        // 000000003994: D1D3032F 04BF6BB4
	v_max3_f32 v47, |v182|, |v183|, v47                        // 00000000399C: D1D3032F 04BF6FB6
	v_max3_f32 v46, |v184|, |v185|, v46                        // 0000000039A4: D1D3032E 04BB73B8
	v_max3_f32 v46, |v186|, |v187|, v46                        // 0000000039AC: D1D3032E 04BB77BA
	v_max3_f32 v47, |v188|, |v189|, v47                        // 0000000039B4: D1D3032F 04BF7BBC
	v_max3_f32 v47, |v190|, |v191|, v47                        // 0000000039BC: D1D3032F 04BF7FBE
	v_max3_f32 v46, |v192|, |v193|, v46                        // 0000000039C4: D1D3032E 04BB83C0
	v_max3_f32 v46, |v194|, |v195|, v46                        // 0000000039CC: D1D3032E 04BB87C2
	v_max3_f32 v47, |v196|, |v197|, v47                        // 0000000039D4: D1D3032F 04BF8BC4
	v_max3_f32 v47, |v198|, |v199|, v47                        // 0000000039DC: D1D3032F 04BF8FC6
	ds_write_b64 v3, v[46:47]                                  // 0000000039E4: D89A0000 00002E03
	s_waitcnt lgkmcnt(0)                                       // 0000000039EC: BF8CC07F
	s_barrier                                                  // 0000000039F0: BF8A0000
	ds_read_b64 v[46:47], v4                                   // 0000000039F4: D8EC0000 2E000004
	ds_read_b64 v[48:49], v4 offset:128                        // 0000000039FC: D8EC0080 30000004
	ds_read_b64 v[50:51], v4 offset:256                        // 000000003A04: D8EC0100 32000004
	ds_read_b64 v[52:53], v4 offset:384                        // 000000003A0C: D8EC0180 34000004
	ds_read_b64 v[54:55], v4 offset:512                        // 000000003A14: D8EC0200 36000004
	ds_read_b64 v[56:57], v4 offset:640                        // 000000003A1C: D8EC0280 38000004
	ds_read_b64 v[58:59], v4 offset:768                        // 000000003A24: D8EC0300 3A000004
	ds_read_b64 v[60:61], v4 offset:896                        // 000000003A2C: D8EC0380 3C000004
	s_waitcnt lgkmcnt(0)                                       // 000000003A34: BF8CC07F
	v_mov_b32_e32 v22, 0x358637bd                              // 000000003A38: 7E2C02FF 358637BD
	v_mov_b32_e32 v23, 0x358637bd                              // 000000003A40: 7E2E02FF 358637BD
	v_max3_f32 v22, |v46|, |v48|, v22                          // 000000003A48: D1D30316 045A612E
	v_max3_f32 v23, |v47|, |v49|, v23                          // 000000003A50: D1D30317 045E632F
	v_max3_f32 v22, |v50|, |v52|, v22                          // 000000003A58: D1D30316 045A6932
	v_max3_f32 v23, |v51|, |v53|, v23                          // 000000003A60: D1D30317 045E6B33
	v_max3_f32 v22, |v54|, |v56|, v22                          // 000000003A68: D1D30316 045A7136
	v_max3_f32 v23, |v55|, |v57|, v23                          // 000000003A70: D1D30317 045E7337
	v_max3_f32 v22, |v58|, |v60|, v22                          // 000000003A78: D1D30316 045A793A
	v_max3_f32 v23, |v59|, |v61|, v23                          // 000000003A80: D1D30317 045E7B3B
	ds_read_b64 v[46:47], v4 offset:1024                       // 000000003A88: D8EC0400 2E000004
	ds_read_b64 v[48:49], v4 offset:1152                       // 000000003A90: D8EC0480 30000004
	ds_read_b64 v[50:51], v4 offset:1280                       // 000000003A98: D8EC0500 32000004
	ds_read_b64 v[52:53], v4 offset:1408                       // 000000003AA0: D8EC0580 34000004
	ds_read_b64 v[54:55], v4 offset:1536                       // 000000003AA8: D8EC0600 36000004
	ds_read_b64 v[56:57], v4 offset:1664                       // 000000003AB0: D8EC0680 38000004
	ds_read_b64 v[58:59], v4 offset:1792                       // 000000003AB8: D8EC0700 3A000004
	ds_read_b64 v[60:61], v4 offset:1920                       // 000000003AC0: D8EC0780 3C000004
	s_waitcnt lgkmcnt(0)                                       // 000000003AC8: BF8CC07F
	v_max3_f32 v22, |v46|, |v48|, v22                          // 000000003ACC: D1D30316 045A612E
	v_max3_f32 v23, |v47|, |v49|, v23                          // 000000003AD4: D1D30317 045E632F
	v_max3_f32 v22, |v50|, |v52|, v22                          // 000000003ADC: D1D30316 045A6932
	v_max3_f32 v23, |v51|, |v53|, v23                          // 000000003AE4: D1D30317 045E6B33
	v_max3_f32 v22, |v54|, |v56|, v22                          // 000000003AEC: D1D30316 045A7136
	v_max3_f32 v23, |v55|, |v57|, v23                          // 000000003AF4: D1D30317 045E7337
	v_max3_f32 v22, |v58|, |v60|, v22                          // 000000003AFC: D1D30316 045A793A
	v_max3_f32 v23, |v59|, |v61|, v23                          // 000000003B04: D1D30317 045E7B3B
	v_mov_b32_e32 v42, 0x42fe0000                              // 000000003B0C: 7E5402FF 42FE0000
	v_rcp_f32_e32 v22, v22                                     // 000000003B14: 7E2C4516
	v_rcp_f32_e32 v23, v23                                     // 000000003B18: 7E2E4517
	s_nop 1                                                    // 000000003B1C: BF800001
	v_mul_f32_e32 v22, v42, v22                                // 000000003B20: 0A2C2D2A
	v_mul_f32_e32 v23, v42, v23                                // 000000003B24: 0A2E2F2A
	v_rcp_f32_e32 v24, v22                                     // 000000003B28: 7E304516
	v_rcp_f32_e32 v25, v23                                     // 000000003B2C: 7E324517
	v_mov_b32_e32 v42, v22                                     // 000000003B30: 7E540316
	v_mov_b32_e32 v43, v22                                     // 000000003B34: 7E560316
	v_mov_b32_e32 v44, v23                                     // 000000003B38: 7E580317
	v_mov_b32_e32 v45, v23                                     // 000000003B3C: 7E5A0317
	v_pk_mul_f32 v[168:169], v[42:43], v[168:169]              // 000000003B40: D3B140A8 1803512A
	v_pk_mul_f32 v[170:171], v[42:43], v[170:171]              // 000000003B48: D3B140AA 1803552A
	v_cvt_i32_f32_e32 v168, v168                               // 000000003B50: 7F5011A8
	v_cvt_i32_f32_e32 v169, v169                               // 000000003B54: 7F5211A9
	v_cvt_i32_f32_e32 v170, v170                               // 000000003B58: 7F5411AA
	v_cvt_i32_f32_e32 v171, v171                               // 000000003B5C: 7F5611AB
	v_perm_b32 v168, v169, v168, s53                           // 000000003B60: D1ED00A8 00D751A9
	v_perm_b32 v168, v170, v168, s54                           // 000000003B68: D1ED00A8 00DB51AA
	v_perm_b32 v168, v171, v168, s55                           // 000000003B70: D1ED00A8 00DF51AB
	v_pk_mul_f32 v[172:173], v[44:45], v[172:173]              // 000000003B78: D3B140AC 1803592C
	v_pk_mul_f32 v[174:175], v[44:45], v[174:175]              // 000000003B80: D3B140AE 18035D2C
	v_cvt_i32_f32_e32 v172, v172                               // 000000003B88: 7F5811AC
	v_cvt_i32_f32_e32 v173, v173                               // 000000003B8C: 7F5A11AD
	v_cvt_i32_f32_e32 v174, v174                               // 000000003B90: 7F5C11AE
	v_cvt_i32_f32_e32 v175, v175                               // 000000003B94: 7F5E11AF
	v_perm_b32 v169, v173, v172, s53                           // 000000003B98: D1ED00A9 00D759AD
	v_perm_b32 v169, v174, v169, s54                           // 000000003BA0: D1ED00A9 00DB53AE
	v_perm_b32 v169, v175, v169, s55                           // 000000003BA8: D1ED00A9 00DF53AF
	v_pk_mul_f32 v[176:177], v[42:43], v[176:177]              // 000000003BB0: D3B140B0 1803612A
	v_pk_mul_f32 v[178:179], v[42:43], v[178:179]              // 000000003BB8: D3B140B2 1803652A
	v_cvt_i32_f32_e32 v176, v176                               // 000000003BC0: 7F6011B0
	v_cvt_i32_f32_e32 v177, v177                               // 000000003BC4: 7F6211B1
	v_cvt_i32_f32_e32 v178, v178                               // 000000003BC8: 7F6411B2
	v_cvt_i32_f32_e32 v179, v179                               // 000000003BCC: 7F6611B3
	v_perm_b32 v170, v177, v176, s53                           // 000000003BD0: D1ED00AA 00D761B1
	v_perm_b32 v170, v178, v170, s54                           // 000000003BD8: D1ED00AA 00DB55B2
	v_perm_b32 v170, v179, v170, s55                           // 000000003BE0: D1ED00AA 00DF55B3
	v_pk_mul_f32 v[180:181], v[44:45], v[180:181]              // 000000003BE8: D3B140B4 1803692C
	v_pk_mul_f32 v[182:183], v[44:45], v[182:183]              // 000000003BF0: D3B140B6 18036D2C
	v_cvt_i32_f32_e32 v180, v180                               // 000000003BF8: 7F6811B4
	v_cvt_i32_f32_e32 v181, v181                               // 000000003BFC: 7F6A11B5
	v_cvt_i32_f32_e32 v182, v182                               // 000000003C00: 7F6C11B6
	v_cvt_i32_f32_e32 v183, v183                               // 000000003C04: 7F6E11B7
	v_perm_b32 v171, v181, v180, s53                           // 000000003C08: D1ED00AB 00D769B5
	v_perm_b32 v171, v182, v171, s54                           // 000000003C10: D1ED00AB 00DB57B6
	v_perm_b32 v171, v183, v171, s55                           // 000000003C18: D1ED00AB 00DF57B7
	v_pk_mul_f32 v[184:185], v[42:43], v[184:185]              // 000000003C20: D3B140B8 1803712A
	v_pk_mul_f32 v[186:187], v[42:43], v[186:187]              // 000000003C28: D3B140BA 1803752A
	v_cvt_i32_f32_e32 v184, v184                               // 000000003C30: 7F7011B8
	v_cvt_i32_f32_e32 v185, v185                               // 000000003C34: 7F7211B9
	v_cvt_i32_f32_e32 v186, v186                               // 000000003C38: 7F7411BA
	v_cvt_i32_f32_e32 v187, v187                               // 000000003C3C: 7F7611BB
	v_perm_b32 v172, v185, v184, s53                           // 000000003C40: D1ED00AC 00D771B9
	v_perm_b32 v172, v186, v172, s54                           // 000000003C48: D1ED00AC 00DB59BA
	v_perm_b32 v172, v187, v172, s55                           // 000000003C50: D1ED00AC 00DF59BB
	v_pk_mul_f32 v[188:189], v[44:45], v[188:189]              // 000000003C58: D3B140BC 1803792C
	v_pk_mul_f32 v[190:191], v[44:45], v[190:191]              // 000000003C60: D3B140BE 18037D2C
	v_cvt_i32_f32_e32 v188, v188                               // 000000003C68: 7F7811BC
	v_cvt_i32_f32_e32 v189, v189                               // 000000003C6C: 7F7A11BD
	v_cvt_i32_f32_e32 v190, v190                               // 000000003C70: 7F7C11BE
	v_cvt_i32_f32_e32 v191, v191                               // 000000003C74: 7F7E11BF
	v_perm_b32 v173, v189, v188, s53                           // 000000003C78: D1ED00AD 00D779BD
	v_perm_b32 v173, v190, v173, s54                           // 000000003C80: D1ED00AD 00DB5BBE
	v_perm_b32 v173, v191, v173, s55                           // 000000003C88: D1ED00AD 00DF5BBF
	v_pk_mul_f32 v[192:193], v[42:43], v[192:193]              // 000000003C90: D3B140C0 1803812A
	v_pk_mul_f32 v[194:195], v[42:43], v[194:195]              // 000000003C98: D3B140C2 1803852A
	v_cvt_i32_f32_e32 v192, v192                               // 000000003CA0: 7F8011C0
	v_cvt_i32_f32_e32 v193, v193                               // 000000003CA4: 7F8211C1
	v_cvt_i32_f32_e32 v194, v194                               // 000000003CA8: 7F8411C2
	v_cvt_i32_f32_e32 v195, v195                               // 000000003CAC: 7F8611C3
	v_perm_b32 v174, v193, v192, s53                           // 000000003CB0: D1ED00AE 00D781C1
	v_perm_b32 v174, v194, v174, s54                           // 000000003CB8: D1ED00AE 00DB5DC2
	v_perm_b32 v174, v195, v174, s55                           // 000000003CC0: D1ED00AE 00DF5DC3
	v_pk_mul_f32 v[196:197], v[44:45], v[196:197]              // 000000003CC8: D3B140C4 1803892C
	v_pk_mul_f32 v[198:199], v[44:45], v[198:199]              // 000000003CD0: D3B140C6 18038D2C
	v_cvt_i32_f32_e32 v196, v196                               // 000000003CD8: 7F8811C4
	v_cvt_i32_f32_e32 v197, v197                               // 000000003CDC: 7F8A11C5
	v_cvt_i32_f32_e32 v198, v198                               // 000000003CE0: 7F8C11C6
	v_cvt_i32_f32_e32 v199, v199                               // 000000003CE4: 7F8E11C7
	v_perm_b32 v175, v197, v196, s53                           // 000000003CE8: D1ED00AF 00D789C5
	v_perm_b32 v175, v198, v175, s54                           // 000000003CF0: D1ED00AF 00DB5FC6
	v_perm_b32 v175, v199, v175, s55                           // 000000003CF8: D1ED00AF 00DF5FC7
	ds_write_b32 v12, v168 offset:2048                         // 000000003D00: D81A0800 0000A80C
	ds_write_b32 v12, v169 offset:6144                         // 000000003D08: D81A1800 0000A90C
	ds_write_b32 v12, v170 offset:3072                         // 000000003D10: D81A0C00 0000AA0C
	ds_write_b32 v12, v171 offset:7168                         // 000000003D18: D81A1C00 0000AB0C
	ds_write_b32 v12, v172 offset:4096                         // 000000003D20: D81A1000 0000AC0C
	ds_write_b32 v12, v173 offset:8192                         // 000000003D28: D81A2000 0000AD0C
	ds_write_b32 v12, v174 offset:5120                         // 000000003D30: D81A1400 0000AE0C
	ds_write_b32 v12, v175 offset:9216                         // 000000003D38: D81A2400 0000AF0C
	s_waitcnt lgkmcnt(0)                                       // 000000003D40: BF8CC07F
	s_barrier                                                  // 000000003D44: BF8A0000
	ds_read_b64 v[168:169], v13 offset:2048                    // 000000003D48: D8EC0800 A800000D
	ds_read_b64 v[170:171], v13 offset:2176                    // 000000003D50: D8EC0880 AA00000D
	ds_read_b64 v[172:173], v13 offset:3072                    // 000000003D58: D8EC0C00 AC00000D
	ds_read_b64 v[174:175], v13 offset:3200                    // 000000003D60: D8EC0C80 AE00000D
	ds_read_b64 v[176:177], v13 offset:4096                    // 000000003D68: D8EC1000 B000000D
	ds_read_b64 v[178:179], v13 offset:4224                    // 000000003D70: D8EC1080 B200000D
	ds_read_b64 v[180:181], v13 offset:5120                    // 000000003D78: D8EC1400 B400000D
	ds_read_b64 v[182:183], v13 offset:5248                    // 000000003D80: D8EC1480 B600000D
	ds_read_b64 v[184:185], v13 offset:6144                    // 000000003D88: D8EC1800 B800000D
	ds_read_b64 v[186:187], v13 offset:6272                    // 000000003D90: D8EC1880 BA00000D
	ds_read_b64 v[188:189], v13 offset:7168                    // 000000003D98: D8EC1C00 BC00000D
	ds_read_b64 v[190:191], v13 offset:7296                    // 000000003DA0: D8EC1C80 BE00000D
	ds_read_b64 v[192:193], v13 offset:8192                    // 000000003DA8: D8EC2000 C000000D
	ds_read_b64 v[194:195], v13 offset:8320                    // 000000003DB0: D8EC2080 C200000D
	ds_read_b64 v[196:197], v13 offset:9216                    // 000000003DB8: D8EC2400 C400000D
	ds_read_b64 v[198:199], v13 offset:9344                    // 000000003DC0: D8EC2480 C600000D
	s_cmp_lt_i32 s5, 2                                         // 000000003DC8: BF048205
	s_cbranch_scc0 label_14D4                                  // 000000003DCC: BF8410E0

0000000000003dd0 <label_03F4>:
	v_mov_b32_e32 v240, v24                                    // 000000003DD0: 7FE00318
	v_mov_b32_e32 v242, v25                                    // 000000003DD4: 7FE40319
	v_mov_b32_e32 v241, v240                                   // 000000003DD8: 7FE203F0
	v_mov_b32_e32 v243, v242                                   // 000000003DDC: 7FE603F2
	s_waitcnt vmcnt(12) lgkmcnt(0)                             // 000000003DE0: BF8C007C
	s_barrier                                                  // 000000003DE4: BF8A0000
	v_mfma_i32_16x16x32_i8 v[232:235], a[0:1], v[168:169], 0   // 000000003DE8: D3D700E8 0A035100
	v_mfma_i32_16x16x32_i8 v[232:235], a[2:3], v[170:171], v[232:235]// 000000003DF0: D3D700E8 0FA35502
	buffer_load_dwordx4 a[80:83], v36, s[92:95], 0 offen       // 000000003DF8: E05C1000 80975024
	v_mfma_i32_16x16x32_i8 v[232:235], a[4:5], v[172:173], v[232:235]// 000000003E00: D3D700E8 0FA35904
	v_mfma_i32_16x16x32_i8 v[232:235], a[6:7], v[174:175], v[232:235]// 000000003E08: D3D700E8 0FA35D06
	buffer_load_dword v28, s[20:23], 0 offen lds               // 000000003E10: E0511000 8005001C
	buffer_load_dword v28, s[20:23], 0 offen offset:256 lds    // 000000003E18: E0511100 8005001C
	s_add_u32 m0, 0x820, s51                                   // 000000003E20: 807C33FF 00000820
	v_mfma_i32_16x16x32_i8 v[232:235], a[8:9], v[176:177], v[232:235]// 000000003E28: D3D700E8 0FA36108
	v_mfma_i32_16x16x32_i8 v[232:235], a[10:11], v[178:179], v[232:235]// 000000003E30: D3D700E8 0FA3650A
	buffer_load_dwordx4 a[84:87], v36, s[92:95], 0 offen offset:1024// 000000003E38: E05C1400 80975424
	v_mfma_i32_16x16x32_i8 v[232:235], a[12:13], v[180:181], v[232:235]// 000000003E40: D3D700E8 0FA3690C
	v_mfma_i32_16x16x32_i8 v[232:235], a[14:15], v[182:183], v[232:235]// 000000003E48: D3D700E8 0FA36D0E
	buffer_load_dword v29, s[20:23], 0 offen lds               // 000000003E50: E0511000 8005001D
	buffer_load_dword v29, s[20:23], 0 offen offset:256 lds    // 000000003E58: E0511100 8005001D
	s_add_u32 m0, 0x1040, s51                                  // 000000003E60: 807C33FF 00001040
	v_mfma_i32_16x16x32_i8 v[236:239], a[0:1], v[184:185], 0   // 000000003E68: D3D700EC 0A037100
	v_mfma_i32_16x16x32_i8 v[236:239], a[2:3], v[186:187], v[236:239]// 000000003E70: D3D700EC 0FB37502
	buffer_load_dwordx4 a[88:91], v36, s[92:95], 0 offen offset:2048// 000000003E78: E05C1800 80975824
	v_mfma_i32_16x16x32_i8 v[236:239], a[4:5], v[188:189], v[236:239]// 000000003E80: D3D700EC 0FB37904
	v_mfma_i32_16x16x32_i8 v[236:239], a[6:7], v[190:191], v[236:239]// 000000003E88: D3D700EC 0FB37D06
	buffer_load_dword v30, s[20:23], 0 offen lds               // 000000003E90: E0511000 8005001E
	buffer_load_dword v30, s[20:23], 0 offen offset:256 lds    // 000000003E98: E0511100 8005001E
	s_add_u32 m0, 0x1860, s51                                  // 000000003EA0: 807C33FF 00001860
	v_mfma_i32_16x16x32_i8 v[236:239], a[8:9], v[192:193], v[236:239]// 000000003EA8: D3D700EC 0FB38108
	v_mfma_i32_16x16x32_i8 v[236:239], a[10:11], v[194:195], v[236:239]// 000000003EB0: D3D700EC 0FB3850A
	buffer_load_dwordx4 a[92:95], v36, s[92:95], 0 offen offset:3072// 000000003EB8: E05C1C00 80975C24
	v_mfma_i32_16x16x32_i8 v[236:239], a[12:13], v[196:197], v[236:239]// 000000003EC0: D3D700EC 0FB3890C
	v_mfma_i32_16x16x32_i8 v[236:239], a[14:15], v[198:199], v[236:239]// 000000003EC8: D3D700EC 0FB38D0E
	buffer_load_dword v31, s[20:23], 0 offen lds               // 000000003ED0: E0511000 8005001F
	buffer_load_dword v31, s[20:23], 0 offen offset:256 lds    // 000000003ED8: E0511100 8005001F
	s_add_u32 m0, 0x2080, s51                                  // 000000003EE0: 807C33FF 00002080
	v_cvt_f32_i32_e32 v232, v232                               // 000000003EE8: 7FD00BE8
	v_cvt_f32_i32_e32 v233, v233                               // 000000003EEC: 7FD20BE9
	v_cvt_f32_i32_e32 v234, v234                               // 000000003EF0: 7FD40BEA
	v_cvt_f32_i32_e32 v235, v235                               // 000000003EF4: 7FD60BEB
	v_pk_fma_f32 v[128:129], v[232:233], v[240:241], v[128:129]// 000000003EF8: D3B04080 1E03E1E8
	v_pk_fma_f32 v[130:131], v[234:235], v[240:241], v[130:131]// 000000003F00: D3B04082 1E0BE1EA
	v_mfma_i32_16x16x32_i8 v[232:235], a[16:17], v[168:169], 0 // 000000003F08: D3D700E8 0A035110
	v_mfma_i32_16x16x32_i8 v[232:235], a[18:19], v[170:171], v[232:235]// 000000003F10: D3D700E8 0FA35512
	buffer_load_dwordx4 a[96:99], v37, s[92:95], 0 offen       // 000000003F18: E05C1000 80976025
	v_mfma_i32_16x16x32_i8 v[232:235], a[20:21], v[172:173], v[232:235]// 000000003F20: D3D700E8 0FA35914
	v_mfma_i32_16x16x32_i8 v[232:235], a[22:23], v[174:175], v[232:235]// 000000003F28: D3D700E8 0FA35D16
	buffer_load_dword v32, s[20:23], 0 offen lds               // 000000003F30: E0511000 80050020
	buffer_load_dword v32, s[20:23], 0 offen offset:256 lds    // 000000003F38: E0511100 80050020
	s_add_u32 m0, 0x28a0, s51                                  // 000000003F40: 807C33FF 000028A0
	v_mfma_i32_16x16x32_i8 v[232:235], a[24:25], v[176:177], v[232:235]// 000000003F48: D3D700E8 0FA36118
	v_mfma_i32_16x16x32_i8 v[232:235], a[26:27], v[178:179], v[232:235]// 000000003F50: D3D700E8 0FA3651A
	buffer_load_dwordx4 a[100:103], v37, s[92:95], 0 offen offset:1024// 000000003F58: E05C1400 80976425
	v_mfma_i32_16x16x32_i8 v[232:235], a[28:29], v[180:181], v[232:235]// 000000003F60: D3D700E8 0FA3691C
	v_mfma_i32_16x16x32_i8 v[232:235], a[30:31], v[182:183], v[232:235]// 000000003F68: D3D700E8 0FA36D1E
	buffer_load_dword v33, s[20:23], 0 offen lds               // 000000003F70: E0511000 80050021
	buffer_load_dword v33, s[20:23], 0 offen offset:256 lds    // 000000003F78: E0511100 80050021
	s_add_u32 m0, 0x30c0, s51                                  // 000000003F80: 807C33FF 000030C0
	v_cvt_f32_i32_e32 v236, v236                               // 000000003F88: 7FD80BEC
	v_cvt_f32_i32_e32 v237, v237                               // 000000003F8C: 7FDA0BED
	v_cvt_f32_i32_e32 v238, v238                               // 000000003F90: 7FDC0BEE
	v_cvt_f32_i32_e32 v239, v239                               // 000000003F94: 7FDE0BEF
	v_pk_fma_f32 v[132:133], v[236:237], v[242:243], v[132:133]// 000000003F98: D3B04084 1E13E5EC
	v_pk_fma_f32 v[134:135], v[238:239], v[242:243], v[134:135]// 000000003FA0: D3B04086 1E1BE5EE
	v_mfma_i32_16x16x32_i8 v[236:239], a[16:17], v[184:185], 0 // 000000003FA8: D3D700EC 0A037110
	v_mfma_i32_16x16x32_i8 v[236:239], a[18:19], v[186:187], v[236:239]// 000000003FB0: D3D700EC 0FB37512
	buffer_load_dwordx4 a[104:107], v37, s[92:95], 0 offen offset:2048// 000000003FB8: E05C1800 80976825
	v_mfma_i32_16x16x32_i8 v[236:239], a[20:21], v[188:189], v[236:239]// 000000003FC0: D3D700EC 0FB37914
	v_mfma_i32_16x16x32_i8 v[236:239], a[22:23], v[190:191], v[236:239]// 000000003FC8: D3D700EC 0FB37D16
	buffer_load_dword v34, s[20:23], 0 offen lds               // 000000003FD0: E0511000 80050022
	buffer_load_dword v34, s[20:23], 0 offen offset:256 lds    // 000000003FD8: E0511100 80050022
	s_add_u32 m0, 0x38e0, s51                                  // 000000003FE0: 807C33FF 000038E0
	v_mfma_i32_16x16x32_i8 v[236:239], a[24:25], v[192:193], v[236:239]// 000000003FE8: D3D700EC 0FB38118
	v_mfma_i32_16x16x32_i8 v[236:239], a[26:27], v[194:195], v[236:239]// 000000003FF0: D3D700EC 0FB3851A
	buffer_load_dwordx4 a[108:111], v37, s[92:95], 0 offen offset:3072// 000000003FF8: E05C1C00 80976C25
	v_mfma_i32_16x16x32_i8 v[236:239], a[28:29], v[196:197], v[236:239]// 000000004000: D3D700EC 0FB3891C
	v_mfma_i32_16x16x32_i8 v[236:239], a[30:31], v[198:199], v[236:239]// 000000004008: D3D700EC 0FB38D1E
	buffer_load_dword v35, s[20:23], 0 offen lds               // 000000004010: E0511000 80050023
	buffer_load_dword v35, s[20:23], 0 offen offset:256 lds    // 000000004018: E0511100 80050023
	s_add_u32 m0, 0, s50                                       // 000000004020: 807C3280
	buffer_load_dword v15, v6, s[28:31], 0 offen               // 000000004024: E0501000 80070F06
	v_cvt_f32_i32_e32 v232, v232                               // 00000000402C: 7FD00BE8
	v_cvt_f32_i32_e32 v233, v233                               // 000000004030: 7FD20BE9
	v_cvt_f32_i32_e32 v234, v234                               // 000000004034: 7FD40BEA
	v_cvt_f32_i32_e32 v235, v235                               // 000000004038: 7FD60BEB
	v_pk_fma_f32 v[136:137], v[232:233], v[240:241], v[136:137]// 00000000403C: D3B04088 1E23E1E8
	v_pk_fma_f32 v[138:139], v[234:235], v[240:241], v[138:139]// 000000004044: D3B0408A 1E2BE1EA
	s_waitcnt vmcnt(33)                                        // 00000000404C: BF8C8F71
	v_mfma_i32_16x16x32_i8 v[232:235], a[32:33], v[168:169], 0 // 000000004050: D3D700E8 0A035120
	v_mfma_i32_16x16x32_i8 v[232:235], a[34:35], v[170:171], v[232:235]// 000000004058: D3D700E8 0FA35522
	buffer_load_dwordx4 a[112:115], v38, s[92:95], 0 offen     // 000000004060: E05C1000 80977026
	v_mfma_i32_16x16x32_i8 v[232:235], a[36:37], v[172:173], v[232:235]// 000000004068: D3D700E8 0FA35924
	v_mfma_i32_16x16x32_i8 v[232:235], a[38:39], v[174:175], v[232:235]// 000000004070: D3D700E8 0FA35D26
	v_mfma_i32_16x16x32_i8 v[232:235], a[40:41], v[176:177], v[232:235]// 000000004078: D3D700E8 0FA36128
	v_mfma_i32_16x16x32_i8 v[232:235], a[42:43], v[178:179], v[232:235]// 000000004080: D3D700E8 0FA3652A
	buffer_load_dwordx4 a[116:119], v38, s[92:95], 0 offen offset:1024// 000000004088: E05C1400 80977426
	v_mfma_i32_16x16x32_i8 v[232:235], a[44:45], v[180:181], v[232:235]// 000000004090: D3D700E8 0FA3692C
	v_mfma_i32_16x16x32_i8 v[232:235], a[46:47], v[182:183], v[232:235]// 000000004098: D3D700E8 0FA36D2E
	v_cvt_f32_i32_e32 v236, v236                               // 0000000040A0: 7FD80BEC
	v_cvt_f32_i32_e32 v237, v237                               // 0000000040A4: 7FDA0BED
	v_cvt_f32_i32_e32 v238, v238                               // 0000000040A8: 7FDC0BEE
	v_cvt_f32_i32_e32 v239, v239                               // 0000000040AC: 7FDE0BEF
	v_pk_fma_f32 v[140:141], v[236:237], v[242:243], v[140:141]// 0000000040B0: D3B0408C 1E33E5EC
	v_pk_fma_f32 v[142:143], v[238:239], v[242:243], v[142:143]// 0000000040B8: D3B0408E 1E3BE5EE
	v_mfma_i32_16x16x32_i8 v[236:239], a[32:33], v[184:185], 0 // 0000000040C0: D3D700EC 0A037120
	v_mfma_i32_16x16x32_i8 v[236:239], a[34:35], v[186:187], v[236:239]// 0000000040C8: D3D700EC 0FB37522
	buffer_load_dwordx4 a[120:123], v38, s[92:95], 0 offen offset:2048// 0000000040D0: E05C1800 80977826
	v_mfma_i32_16x16x32_i8 v[236:239], a[36:37], v[188:189], v[236:239]// 0000000040D8: D3D700EC 0FB37924
	v_mfma_i32_16x16x32_i8 v[236:239], a[38:39], v[190:191], v[236:239]// 0000000040E0: D3D700EC 0FB37D26
	v_mfma_i32_16x16x32_i8 v[236:239], a[40:41], v[192:193], v[236:239]// 0000000040E8: D3D700EC 0FB38128
	v_mfma_i32_16x16x32_i8 v[236:239], a[42:43], v[194:195], v[236:239]// 0000000040F0: D3D700EC 0FB3852A
	buffer_load_dwordx4 a[124:127], v38, s[92:95], 0 offen offset:3072// 0000000040F8: E05C1C00 80977C26
	v_mfma_i32_16x16x32_i8 v[236:239], a[44:45], v[196:197], v[236:239]// 000000004100: D3D700EC 0FB3892C
	v_mfma_i32_16x16x32_i8 v[236:239], a[46:47], v[198:199], v[236:239]// 000000004108: D3D700EC 0FB38D2E
	v_cvt_f32_i32_e32 v232, v232                               // 000000004110: 7FD00BE8
	v_cvt_f32_i32_e32 v233, v233                               // 000000004114: 7FD20BE9
	v_cvt_f32_i32_e32 v234, v234                               // 000000004118: 7FD40BEA
	v_cvt_f32_i32_e32 v235, v235                               // 00000000411C: 7FD60BEB
	v_pk_fma_f32 v[144:145], v[232:233], v[240:241], v[144:145]// 000000004120: D3B04090 1E43E1E8
	v_pk_fma_f32 v[146:147], v[234:235], v[240:241], v[146:147]// 000000004128: D3B04092 1E4BE1EA
	s_waitcnt vmcnt(33)                                        // 000000004130: BF8C8F71
	v_mfma_i32_16x16x32_i8 v[232:235], a[48:49], v[168:169], 0 // 000000004134: D3D700E8 0A035130
	v_mfma_i32_16x16x32_i8 v[232:235], a[50:51], v[170:171], v[232:235]// 00000000413C: D3D700E8 0FA35532
	buffer_load_dwordx4 a[128:131], v39, s[92:95], 0 offen     // 000000004144: E05C1000 80978027
	v_mfma_i32_16x16x32_i8 v[232:235], a[52:53], v[172:173], v[232:235]// 00000000414C: D3D700E8 0FA35934
	v_mfma_i32_16x16x32_i8 v[232:235], a[54:55], v[174:175], v[232:235]// 000000004154: D3D700E8 0FA35D36
	v_mfma_i32_16x16x32_i8 v[232:235], a[56:57], v[176:177], v[232:235]// 00000000415C: D3D700E8 0FA36138
	v_mfma_i32_16x16x32_i8 v[232:235], a[58:59], v[178:179], v[232:235]// 000000004164: D3D700E8 0FA3653A
	buffer_load_dwordx4 a[132:135], v39, s[92:95], 0 offen offset:1024// 00000000416C: E05C1400 80978427
	v_mfma_i32_16x16x32_i8 v[232:235], a[60:61], v[180:181], v[232:235]// 000000004174: D3D700E8 0FA3693C
	v_mfma_i32_16x16x32_i8 v[232:235], a[62:63], v[182:183], v[232:235]// 00000000417C: D3D700E8 0FA36D3E
	v_cvt_f32_i32_e32 v236, v236                               // 000000004184: 7FD80BEC
	v_cvt_f32_i32_e32 v237, v237                               // 000000004188: 7FDA0BED
	v_cvt_f32_i32_e32 v238, v238                               // 00000000418C: 7FDC0BEE
	v_cvt_f32_i32_e32 v239, v239                               // 000000004190: 7FDE0BEF
	v_pk_fma_f32 v[148:149], v[236:237], v[242:243], v[148:149]// 000000004194: D3B04094 1E53E5EC
	v_pk_fma_f32 v[150:151], v[238:239], v[242:243], v[150:151]// 00000000419C: D3B04096 1E5BE5EE
	v_mfma_i32_16x16x32_i8 v[236:239], a[48:49], v[184:185], 0 // 0000000041A4: D3D700EC 0A037130
	v_mfma_i32_16x16x32_i8 v[236:239], a[50:51], v[186:187], v[236:239]// 0000000041AC: D3D700EC 0FB37532
	buffer_load_dwordx4 a[136:139], v39, s[92:95], 0 offen offset:2048// 0000000041B4: E05C1800 80978827
	v_mfma_i32_16x16x32_i8 v[236:239], a[52:53], v[188:189], v[236:239]// 0000000041BC: D3D700EC 0FB37934
	v_mfma_i32_16x16x32_i8 v[236:239], a[54:55], v[190:191], v[236:239]// 0000000041C4: D3D700EC 0FB37D36
	v_mfma_i32_16x16x32_i8 v[236:239], a[56:57], v[192:193], v[236:239]// 0000000041CC: D3D700EC 0FB38138
	v_mfma_i32_16x16x32_i8 v[236:239], a[58:59], v[194:195], v[236:239]// 0000000041D4: D3D700EC 0FB3853A
	buffer_load_dwordx4 a[140:143], v39, s[92:95], 0 offen offset:3072// 0000000041DC: E05C1C00 80978C27
	v_mfma_i32_16x16x32_i8 v[236:239], a[60:61], v[196:197], v[236:239]// 0000000041E4: D3D700EC 0FB3893C
	v_mfma_i32_16x16x32_i8 v[236:239], a[62:63], v[198:199], v[236:239]// 0000000041EC: D3D700EC 0FB38D3E
	v_cvt_f32_i32_e32 v232, v232                               // 0000000041F4: 7FD00BE8
	v_cvt_f32_i32_e32 v233, v233                               // 0000000041F8: 7FD20BE9
	v_cvt_f32_i32_e32 v234, v234                               // 0000000041FC: 7FD40BEA
	v_cvt_f32_i32_e32 v235, v235                               // 000000004200: 7FD60BEB
	v_pk_fma_f32 v[152:153], v[232:233], v[240:241], v[152:153]// 000000004204: D3B04098 1E63E1E8
	v_pk_fma_f32 v[154:155], v[234:235], v[240:241], v[154:155]// 00000000420C: D3B0409A 1E6BE1EA
	s_waitcnt vmcnt(33)                                        // 000000004214: BF8C8F71
	v_mfma_i32_16x16x32_i8 v[232:235], a[64:65], v[168:169], 0 // 000000004218: D3D700E8 0A035140
	v_mfma_i32_16x16x32_i8 v[232:235], a[66:67], v[170:171], v[232:235]// 000000004220: D3D700E8 0FA35542
	buffer_load_dwordx4 a[144:147], v40, s[92:95], 0 offen     // 000000004228: E05C1000 80979028
	v_mfma_i32_16x16x32_i8 v[232:235], a[68:69], v[172:173], v[232:235]// 000000004230: D3D700E8 0FA35944
	v_mfma_i32_16x16x32_i8 v[232:235], a[70:71], v[174:175], v[232:235]// 000000004238: D3D700E8 0FA35D46
	v_mfma_i32_16x16x32_i8 v[232:235], a[72:73], v[176:177], v[232:235]// 000000004240: D3D700E8 0FA36148
	v_mfma_i32_16x16x32_i8 v[232:235], a[74:75], v[178:179], v[232:235]// 000000004248: D3D700E8 0FA3654A
	buffer_load_dwordx4 a[148:151], v40, s[92:95], 0 offen offset:1024// 000000004250: E05C1400 80979428
	v_mfma_i32_16x16x32_i8 v[232:235], a[76:77], v[180:181], v[232:235]// 000000004258: D3D700E8 0FA3694C
	v_mfma_i32_16x16x32_i8 v[232:235], a[78:79], v[182:183], v[232:235]// 000000004260: D3D700E8 0FA36D4E
	v_cvt_f32_i32_e32 v236, v236                               // 000000004268: 7FD80BEC
	v_cvt_f32_i32_e32 v237, v237                               // 00000000426C: 7FDA0BED
	v_cvt_f32_i32_e32 v238, v238                               // 000000004270: 7FDC0BEE
	v_cvt_f32_i32_e32 v239, v239                               // 000000004274: 7FDE0BEF
	v_pk_fma_f32 v[156:157], v[236:237], v[242:243], v[156:157]// 000000004278: D3B0409C 1E73E5EC
	v_pk_fma_f32 v[158:159], v[238:239], v[242:243], v[158:159]// 000000004280: D3B0409E 1E7BE5EE
	v_mfma_i32_16x16x32_i8 v[236:239], a[64:65], v[184:185], 0 // 000000004288: D3D700EC 0A037140
	v_mfma_i32_16x16x32_i8 v[236:239], a[66:67], v[186:187], v[236:239]// 000000004290: D3D700EC 0FB37542
	buffer_load_dwordx4 a[152:155], v40, s[92:95], 0 offen offset:2048// 000000004298: E05C1800 80979828
	v_mfma_i32_16x16x32_i8 v[236:239], a[68:69], v[188:189], v[236:239]// 0000000042A0: D3D700EC 0FB37944
	v_mfma_i32_16x16x32_i8 v[236:239], a[70:71], v[190:191], v[236:239]// 0000000042A8: D3D700EC 0FB37D46
	v_mfma_i32_16x16x32_i8 v[236:239], a[72:73], v[192:193], v[236:239]// 0000000042B0: D3D700EC 0FB38148
	v_mfma_i32_16x16x32_i8 v[236:239], a[74:75], v[194:195], v[236:239]// 0000000042B8: D3D700EC 0FB3854A
	buffer_load_dwordx4 a[156:159], v40, s[92:95], 0 offen offset:3072// 0000000042C0: E05C1C00 80979C28
	v_mfma_i32_16x16x32_i8 v[236:239], a[76:77], v[196:197], v[236:239]// 0000000042C8: D3D700EC 0FB3894C
	v_mfma_i32_16x16x32_i8 v[236:239], a[78:79], v[198:199], v[236:239]// 0000000042D0: D3D700EC 0FB38D4E
	v_cvt_f32_i32_e32 v232, v232                               // 0000000042D8: 7FD00BE8
	v_cvt_f32_i32_e32 v233, v233                               // 0000000042DC: 7FD20BE9
	v_cvt_f32_i32_e32 v234, v234                               // 0000000042E0: 7FD40BEA
	v_cvt_f32_i32_e32 v235, v235                               // 0000000042E4: 7FD60BEB
	v_pk_fma_f32 v[160:161], v[232:233], v[240:241], v[160:161]// 0000000042E8: D3B040A0 1E83E1E8
	v_pk_fma_f32 v[162:163], v[234:235], v[240:241], v[162:163]// 0000000042F0: D3B040A2 1E8BE1EA
	v_cvt_f32_i32_e32 v236, v236                               // 0000000042F8: 7FD80BEC
	v_cvt_f32_i32_e32 v237, v237                               // 0000000042FC: 7FDA0BED
	v_cvt_f32_i32_e32 v238, v238                               // 000000004300: 7FDC0BEE
	v_cvt_f32_i32_e32 v239, v239                               // 000000004304: 7FDE0BEF
	v_pk_fma_f32 v[164:165], v[236:237], v[242:243], v[164:165]// 000000004308: D3B040A4 1E93E5EC
	v_pk_fma_f32 v[166:167], v[238:239], v[242:243], v[166:167]// 000000004310: D3B040A6 1E9BE5EE
	s_waitcnt vmcnt(12)                                        // 000000004318: BF8C0F7C
	s_barrier                                                  // 00000000431C: BF8A0000
	v_mfma_i32_16x16x32_i8 v[232:235], a[80:81], v[168:169], 0 // 000000004320: D3D700E8 0A035150
	ds_read_b64 v[200:201], v2 offset:18688                    // 000000004328: D8EC4900 C8000002
	ds_read_b64 v[204:205], v2 offset:27008                    // 000000004330: D8EC6980 CC000002
	v_mfma_i32_16x16x32_i8 v[232:235], a[82:83], v[170:171], v[232:235]// 000000004338: D3D700E8 0FA35552
	buffer_load_dwordx4 a[0:3], v36, s[24:27], 0 offen         // 000000004340: E05C1000 80860024
	v_mfma_i32_16x16x32_i8 v[232:235], a[84:85], v[172:173], v[232:235]// 000000004348: D3D700E8 0FA35954
	ds_read_b64 v[208:209], v2 offset:18816                    // 000000004350: D8EC4980 D0000002
	ds_read_b64 v[212:213], v2 offset:27136                    // 000000004358: D8EC6A00 D4000002
	v_mfma_i32_16x16x32_i8 v[232:235], a[86:87], v[174:175], v[232:235]// 000000004360: D3D700E8 0FA35D56
	v_mfma_i32_16x16x32_i8 v[232:235], a[88:89], v[176:177], v[232:235]// 000000004368: D3D700E8 0FA36158
	ds_read_b64 v[216:217], v2 offset:18944                    // 000000004370: D8EC4A00 D8000002
	ds_read_b64 v[220:221], v2 offset:27264                    // 000000004378: D8EC6A80 DC000002
	v_mfma_i32_16x16x32_i8 v[232:235], a[90:91], v[178:179], v[232:235]// 000000004380: D3D700E8 0FA3655A
	buffer_load_dwordx4 a[4:7], v36, s[24:27], 0 offen offset:1024// 000000004388: E05C1400 80860424
	v_mfma_i32_16x16x32_i8 v[232:235], a[92:93], v[180:181], v[232:235]// 000000004390: D3D700E8 0FA3695C
	ds_read_b64 v[224:225], v2 offset:19072                    // 000000004398: D8EC4A80 E0000002
	ds_read_b64 v[228:229], v2 offset:27392                    // 0000000043A0: D8EC6B00 E4000002
	v_mfma_i32_16x16x32_i8 v[232:235], a[94:95], v[182:183], v[232:235]// 0000000043A8: D3D700E8 0FA36D5E
	s_waitcnt lgkmcnt(4)                                       // 0000000043B0: BF8CC47F
	v_and_b32_e32 v203, 0xffff0000, v201                       // 0000000043B4: 279792FF FFFF0000
	v_lshlrev_b32_e32 v202, 16, v201                           // 0000000043BC: 25959290
	v_and_b32_e32 v201, 0xffff0000, v200                       // 0000000043C0: 279390FF FFFF0000
	v_lshlrev_b32_e32 v200, 16, v200                           // 0000000043C8: 25919090
	v_and_b32_e32 v207, 0xffff0000, v205                       // 0000000043CC: 279F9AFF FFFF0000
	v_lshlrev_b32_e32 v206, 16, v205                           // 0000000043D4: 259D9A90
	v_and_b32_e32 v205, 0xffff0000, v204                       // 0000000043D8: 279B98FF FFFF0000
	v_lshlrev_b32_e32 v204, 16, v204                           // 0000000043E0: 25999890
	v_and_b32_e32 v211, 0xffff0000, v209                       // 0000000043E4: 27A7A2FF FFFF0000
	v_lshlrev_b32_e32 v210, 16, v209                           // 0000000043EC: 25A5A290
	v_and_b32_e32 v209, 0xffff0000, v208                       // 0000000043F0: 27A3A0FF FFFF0000
	v_lshlrev_b32_e32 v208, 16, v208                           // 0000000043F8: 25A1A090
	v_and_b32_e32 v215, 0xffff0000, v213                       // 0000000043FC: 27AFAAFF FFFF0000
	v_lshlrev_b32_e32 v214, 16, v213                           // 000000004404: 25ADAA90
	v_and_b32_e32 v213, 0xffff0000, v212                       // 000000004408: 27ABA8FF FFFF0000
	v_lshlrev_b32_e32 v212, 16, v212                           // 000000004410: 25A9A890
	v_mul_f32_dpp v200, v15, v200 row_newbcast:0 row_mask:0xf bank_mask:0xf// 000000004414: 0B9190FA FF01500F
	v_mul_f32_dpp v201, v15, v201 row_newbcast:1 row_mask:0xf bank_mask:0xf// 00000000441C: 0B9392FA FF01510F
	v_mul_f32_dpp v202, v15, v202 row_newbcast:2 row_mask:0xf bank_mask:0xf// 000000004424: 0B9594FA FF01520F
	v_mul_f32_dpp v203, v15, v203 row_newbcast:3 row_mask:0xf bank_mask:0xf// 00000000442C: 0B9796FA FF01530F
	v_mul_f32_dpp v204, v15, v204 row_newbcast:0 row_mask:0xf bank_mask:0xf// 000000004434: 0B9998FA FF01500F
	v_mul_f32_dpp v205, v15, v205 row_newbcast:1 row_mask:0xf bank_mask:0xf// 00000000443C: 0B9B9AFA FF01510F
	v_mul_f32_dpp v206, v15, v206 row_newbcast:2 row_mask:0xf bank_mask:0xf// 000000004444: 0B9D9CFA FF01520F
	v_mul_f32_dpp v207, v15, v207 row_newbcast:3 row_mask:0xf bank_mask:0xf// 00000000444C: 0B9F9EFA FF01530F
	v_mul_f32_dpp v208, v15, v208 row_newbcast:4 row_mask:0xf bank_mask:0xf// 000000004454: 0BA1A0FA FF01540F
	v_mul_f32_dpp v209, v15, v209 row_newbcast:5 row_mask:0xf bank_mask:0xf// 00000000445C: 0BA3A2FA FF01550F
	v_mul_f32_dpp v210, v15, v210 row_newbcast:6 row_mask:0xf bank_mask:0xf// 000000004464: 0BA5A4FA FF01560F
	v_mul_f32_dpp v211, v15, v211 row_newbcast:7 row_mask:0xf bank_mask:0xf// 00000000446C: 0BA7A6FA FF01570F
	v_mul_f32_dpp v212, v15, v212 row_newbcast:4 row_mask:0xf bank_mask:0xf// 000000004474: 0BA9A8FA FF01540F
	v_mul_f32_dpp v213, v15, v213 row_newbcast:5 row_mask:0xf bank_mask:0xf// 00000000447C: 0BABAAFA FF01550F
	v_mul_f32_dpp v214, v15, v214 row_newbcast:6 row_mask:0xf bank_mask:0xf// 000000004484: 0BADACFA FF01560F
	v_mul_f32_dpp v215, v15, v215 row_newbcast:7 row_mask:0xf bank_mask:0xf// 00000000448C: 0BAFAEFA FF01570F
	v_mfma_i32_16x16x32_i8 v[236:239], a[80:81], v[184:185], 0 // 000000004494: D3D700EC 0A037150
	v_mfma_i32_16x16x32_i8 v[236:239], a[82:83], v[186:187], v[236:239]// 00000000449C: D3D700EC 0FB37552
	buffer_load_dwordx4 a[8:11], v36, s[24:27], 0 offen offset:2048// 0000000044A4: E05C1800 80860824
	v_mfma_i32_16x16x32_i8 v[236:239], a[84:85], v[188:189], v[236:239]// 0000000044AC: D3D700EC 0FB37954
	v_mfma_i32_16x16x32_i8 v[236:239], a[86:87], v[190:191], v[236:239]// 0000000044B4: D3D700EC 0FB37D56
	v_mfma_i32_16x16x32_i8 v[236:239], a[88:89], v[192:193], v[236:239]// 0000000044BC: D3D700EC 0FB38158
	v_mfma_i32_16x16x32_i8 v[236:239], a[90:91], v[194:195], v[236:239]// 0000000044C4: D3D700EC 0FB3855A
	buffer_load_dwordx4 a[12:15], v36, s[24:27], 0 offen offset:3072// 0000000044CC: E05C1C00 80860C24
	v_mfma_i32_16x16x32_i8 v[236:239], a[92:93], v[196:197], v[236:239]// 0000000044D4: D3D700EC 0FB3895C
	v_mfma_i32_16x16x32_i8 v[236:239], a[94:95], v[198:199], v[236:239]// 0000000044DC: D3D700EC 0FB38D5E
	s_waitcnt lgkmcnt(0)                                       // 0000000044E4: BF8CC07F
	v_and_b32_e32 v219, 0xffff0000, v217                       // 0000000044E8: 27B7B2FF FFFF0000
	v_lshlrev_b32_e32 v218, 16, v217                           // 0000000044F0: 25B5B290
	v_and_b32_e32 v217, 0xffff0000, v216                       // 0000000044F4: 27B3B0FF FFFF0000
	v_lshlrev_b32_e32 v216, 16, v216                           // 0000000044FC: 25B1B090
	v_and_b32_e32 v223, 0xffff0000, v221                       // 000000004500: 27BFBAFF FFFF0000
	v_lshlrev_b32_e32 v222, 16, v221                           // 000000004508: 25BDBA90
	v_and_b32_e32 v221, 0xffff0000, v220                       // 00000000450C: 27BBB8FF FFFF0000
	v_lshlrev_b32_e32 v220, 16, v220                           // 000000004514: 25B9B890
	v_and_b32_e32 v227, 0xffff0000, v225                       // 000000004518: 27C7C2FF FFFF0000
	v_lshlrev_b32_e32 v226, 16, v225                           // 000000004520: 25C5C290
	v_and_b32_e32 v225, 0xffff0000, v224                       // 000000004524: 27C3C0FF FFFF0000
	v_lshlrev_b32_e32 v224, 16, v224                           // 00000000452C: 25C1C090
	v_and_b32_e32 v231, 0xffff0000, v229                       // 000000004530: 27CFCAFF FFFF0000
	v_lshlrev_b32_e32 v230, 16, v229                           // 000000004538: 25CDCA90
	v_and_b32_e32 v229, 0xffff0000, v228                       // 00000000453C: 27CBC8FF FFFF0000
	v_lshlrev_b32_e32 v228, 16, v228                           // 000000004544: 25C9C890
	v_mul_f32_dpp v216, v15, v216 row_newbcast:8 row_mask:0xf bank_mask:0xf// 000000004548: 0BB1B0FA FF01580F
	v_mul_f32_dpp v217, v15, v217 row_newbcast:9 row_mask:0xf bank_mask:0xf// 000000004550: 0BB3B2FA FF01590F
	v_mul_f32_dpp v218, v15, v218 row_newbcast:10 row_mask:0xf bank_mask:0xf// 000000004558: 0BB5B4FA FF015A0F
	v_mul_f32_dpp v219, v15, v219 row_newbcast:11 row_mask:0xf bank_mask:0xf// 000000004560: 0BB7B6FA FF015B0F
	v_mul_f32_dpp v220, v15, v220 row_newbcast:8 row_mask:0xf bank_mask:0xf// 000000004568: 0BB9B8FA FF01580F
	v_mul_f32_dpp v221, v15, v221 row_newbcast:9 row_mask:0xf bank_mask:0xf// 000000004570: 0BBBBAFA FF01590F
	v_mul_f32_dpp v222, v15, v222 row_newbcast:10 row_mask:0xf bank_mask:0xf// 000000004578: 0BBDBCFA FF015A0F
	v_mul_f32_dpp v223, v15, v223 row_newbcast:11 row_mask:0xf bank_mask:0xf// 000000004580: 0BBFBEFA FF015B0F
	v_mul_f32_dpp v224, v15, v224 row_newbcast:12 row_mask:0xf bank_mask:0xf// 000000004588: 0BC1C0FA FF015C0F
	v_mul_f32_dpp v225, v15, v225 row_newbcast:13 row_mask:0xf bank_mask:0xf// 000000004590: 0BC3C2FA FF015D0F
	v_mul_f32_dpp v226, v15, v226 row_newbcast:14 row_mask:0xf bank_mask:0xf// 000000004598: 0BC5C4FA FF015E0F
	v_mul_f32_dpp v227, v15, v227 row_newbcast:15 row_mask:0xf bank_mask:0xf// 0000000045A0: 0BC7C6FA FF015F0F
	v_mul_f32_dpp v228, v15, v228 row_newbcast:12 row_mask:0xf bank_mask:0xf// 0000000045A8: 0BC9C8FA FF015C0F
	v_mul_f32_dpp v229, v15, v229 row_newbcast:13 row_mask:0xf bank_mask:0xf// 0000000045B0: 0BCBCAFA FF015D0F
	v_mul_f32_dpp v230, v15, v230 row_newbcast:14 row_mask:0xf bank_mask:0xf// 0000000045B8: 0BCDCCFA FF015E0F
	v_mul_f32_dpp v231, v15, v231 row_newbcast:15 row_mask:0xf bank_mask:0xf// 0000000045C0: 0BCFCEFA FF015F0F
	v_cvt_f32_i32_e32 v232, v232                               // 0000000045C8: 7FD00BE8
	v_cvt_f32_i32_e32 v233, v233                               // 0000000045CC: 7FD20BE9
	v_cvt_f32_i32_e32 v234, v234                               // 0000000045D0: 7FD40BEA
	v_cvt_f32_i32_e32 v235, v235                               // 0000000045D4: 7FD60BEB
	v_pk_fma_f32 v[64:65], v[232:233], v[240:241], v[64:65]    // 0000000045D8: D3B04040 1D03E1E8
	v_pk_fma_f32 v[66:67], v[234:235], v[240:241], v[66:67]    // 0000000045E0: D3B04042 1D0BE1EA
	v_mfma_i32_16x16x32_i8 v[232:235], a[96:97], v[168:169], 0 // 0000000045E8: D3D700E8 0A035160
	v_mfma_i32_16x16x32_i8 v[232:235], a[98:99], v[170:171], v[232:235]// 0000000045F0: D3D700E8 0FA35562
	buffer_load_dwordx4 a[16:19], v37, s[24:27], 0 offen       // 0000000045F8: E05C1000 80861025
	v_mov_b32_e32 v46, 0x358637bd                              // 000000004600: 7E5C02FF 358637BD
	v_mov_b32_e32 v47, 0x358637bd                              // 000000004608: 7E5E02FF 358637BD
	v_max3_f32 v46, |v200|, |v201|, v46                        // 000000004610: D1D3032E 04BB93C8
	v_max3_f32 v46, |v202|, |v203|, v46                        // 000000004618: D1D3032E 04BB97CA
	v_max3_f32 v47, |v204|, |v205|, v47                        // 000000004620: D1D3032F 04BF9BCC
	v_max3_f32 v47, |v206|, |v207|, v47                        // 000000004628: D1D3032F 04BF9FCE
	v_max3_f32 v46, |v208|, |v209|, v46                        // 000000004630: D1D3032E 04BBA3D0
	v_max3_f32 v46, |v210|, |v211|, v46                        // 000000004638: D1D3032E 04BBA7D2
	v_max3_f32 v47, |v212|, |v213|, v47                        // 000000004640: D1D3032F 04BFABD4
	v_max3_f32 v47, |v214|, |v215|, v47                        // 000000004648: D1D3032F 04BFAFD6
	v_max3_f32 v46, |v216|, |v217|, v46                        // 000000004650: D1D3032E 04BBB3D8
	v_max3_f32 v46, |v218|, |v219|, v46                        // 000000004658: D1D3032E 04BBB7DA
	v_max3_f32 v47, |v220|, |v221|, v47                        // 000000004660: D1D3032F 04BFBBDC
	v_max3_f32 v47, |v222|, |v223|, v47                        // 000000004668: D1D3032F 04BFBFDE
	v_max3_f32 v46, |v224|, |v225|, v46                        // 000000004670: D1D3032E 04BBC3E0
	v_max3_f32 v46, |v226|, |v227|, v46                        // 000000004678: D1D3032E 04BBC7E2
	v_max3_f32 v47, |v228|, |v229|, v47                        // 000000004680: D1D3032F 04BFCBE4
	v_max3_f32 v47, |v230|, |v231|, v47                        // 000000004688: D1D3032F 04BFCFE6
	v_mfma_i32_16x16x32_i8 v[232:235], a[100:101], v[172:173], v[232:235]// 000000004690: D3D700E8 0FA35964
	ds_write_b64 v3, v[46:47]                                  // 000000004698: D89A0000 00002E03
	v_mfma_i32_16x16x32_i8 v[232:235], a[102:103], v[174:175], v[232:235]// 0000000046A0: D3D700E8 0FA35D66
	v_mfma_i32_16x16x32_i8 v[232:235], a[104:105], v[176:177], v[232:235]// 0000000046A8: D3D700E8 0FA36168
	v_mfma_i32_16x16x32_i8 v[232:235], a[106:107], v[178:179], v[232:235]// 0000000046B0: D3D700E8 0FA3656A
	buffer_load_dwordx4 a[20:23], v37, s[24:27], 0 offen offset:1024// 0000000046B8: E05C1400 80861425
	s_waitcnt lgkmcnt(0)                                       // 0000000046C0: BF8CC07F
	s_barrier                                                  // 0000000046C4: BF8A0000
	v_mfma_i32_16x16x32_i8 v[232:235], a[108:109], v[180:181], v[232:235]// 0000000046C8: D3D700E8 0FA3696C
	ds_read_b64 v[46:47], v4                                   // 0000000046D0: D8EC0000 2E000004
	ds_read_b64 v[48:49], v4 offset:128                        // 0000000046D8: D8EC0080 30000004
	v_mfma_i32_16x16x32_i8 v[232:235], a[110:111], v[182:183], v[232:235]// 0000000046E0: D3D700E8 0FA36D6E
	v_cvt_f32_i32_e32 v236, v236                               // 0000000046E8: 7FD80BEC
	v_cvt_f32_i32_e32 v237, v237                               // 0000000046EC: 7FDA0BED
	v_cvt_f32_i32_e32 v238, v238                               // 0000000046F0: 7FDC0BEE
	v_cvt_f32_i32_e32 v239, v239                               // 0000000046F4: 7FDE0BEF
	v_pk_fma_f32 v[68:69], v[236:237], v[242:243], v[68:69]    // 0000000046F8: D3B04044 1D13E5EC
	v_pk_fma_f32 v[70:71], v[238:239], v[242:243], v[70:71]    // 000000004700: D3B04046 1D1BE5EE
	v_mfma_i32_16x16x32_i8 v[236:239], a[96:97], v[184:185], 0 // 000000004708: D3D700EC 0A037160
	ds_read_b64 v[50:51], v4 offset:256                        // 000000004710: D8EC0100 32000004
	ds_read_b64 v[52:53], v4 offset:384                        // 000000004718: D8EC0180 34000004
	v_mfma_i32_16x16x32_i8 v[236:239], a[98:99], v[186:187], v[236:239]// 000000004720: D3D700EC 0FB37562
	buffer_load_dwordx4 a[24:27], v37, s[24:27], 0 offen offset:2048// 000000004728: E05C1800 80861825
	v_mfma_i32_16x16x32_i8 v[236:239], a[100:101], v[188:189], v[236:239]// 000000004730: D3D700EC 0FB37964
	ds_read_b64 v[54:55], v4 offset:512                        // 000000004738: D8EC0200 36000004
	ds_read_b64 v[56:57], v4 offset:640                        // 000000004740: D8EC0280 38000004
	v_mfma_i32_16x16x32_i8 v[236:239], a[102:103], v[190:191], v[236:239]// 000000004748: D3D700EC 0FB37D66
	v_mfma_i32_16x16x32_i8 v[236:239], a[104:105], v[192:193], v[236:239]// 000000004750: D3D700EC 0FB38168
	ds_read_b64 v[58:59], v4 offset:768                        // 000000004758: D8EC0300 3A000004
	ds_read_b64 v[60:61], v4 offset:896                        // 000000004760: D8EC0380 3C000004
	v_mfma_i32_16x16x32_i8 v[236:239], a[106:107], v[194:195], v[236:239]// 000000004768: D3D700EC 0FB3856A
	buffer_load_dwordx4 a[28:31], v37, s[24:27], 0 offen offset:3072// 000000004770: E05C1C00 80861C25
	v_mfma_i32_16x16x32_i8 v[236:239], a[108:109], v[196:197], v[236:239]// 000000004778: D3D700EC 0FB3896C
	v_mfma_i32_16x16x32_i8 v[236:239], a[110:111], v[198:199], v[236:239]// 000000004780: D3D700EC 0FB38D6E
	v_cvt_f32_i32_e32 v232, v232                               // 000000004788: 7FD00BE8
	v_cvt_f32_i32_e32 v233, v233                               // 00000000478C: 7FD20BE9
	v_cvt_f32_i32_e32 v234, v234                               // 000000004790: 7FD40BEA
	v_cvt_f32_i32_e32 v235, v235                               // 000000004794: 7FD60BEB
	v_pk_fma_f32 v[72:73], v[232:233], v[240:241], v[72:73]    // 000000004798: D3B04048 1D23E1E8
	v_pk_fma_f32 v[74:75], v[234:235], v[240:241], v[74:75]    // 0000000047A0: D3B0404A 1D2BE1EA
	s_waitcnt vmcnt(16)                                        // 0000000047A8: BF8C4F70
	v_mfma_i32_16x16x32_i8 v[232:235], a[112:113], v[168:169], 0// 0000000047AC: D3D700E8 0A035170
	v_mfma_i32_16x16x32_i8 v[232:235], a[114:115], v[170:171], v[232:235]// 0000000047B4: D3D700E8 0FA35572
	buffer_load_dwordx4 a[32:35], v38, s[24:27], 0 offen       // 0000000047BC: E05C1000 80862026
	s_waitcnt lgkmcnt(0)                                       // 0000000047C4: BF8CC07F
	v_mov_b32_e32 v22, 0x358637bd                              // 0000000047C8: 7E2C02FF 358637BD
	v_mov_b32_e32 v23, 0x358637bd                              // 0000000047D0: 7E2E02FF 358637BD
	v_max3_f32 v22, |v46|, |v48|, v22                          // 0000000047D8: D1D30316 045A612E
	v_max3_f32 v23, |v47|, |v49|, v23                          // 0000000047E0: D1D30317 045E632F
	v_max3_f32 v22, |v50|, |v52|, v22                          // 0000000047E8: D1D30316 045A6932
	v_max3_f32 v23, |v51|, |v53|, v23                          // 0000000047F0: D1D30317 045E6B33
	v_max3_f32 v22, |v54|, |v56|, v22                          // 0000000047F8: D1D30316 045A7136
	v_max3_f32 v23, |v55|, |v57|, v23                          // 000000004800: D1D30317 045E7337
	v_max3_f32 v22, |v58|, |v60|, v22                          // 000000004808: D1D30316 045A793A
	v_max3_f32 v23, |v59|, |v61|, v23                          // 000000004810: D1D30317 045E7B3B
	v_mfma_i32_16x16x32_i8 v[232:235], a[116:117], v[172:173], v[232:235]// 000000004818: D3D700E8 0FA35974
	ds_read_b64 v[46:47], v4 offset:1024                       // 000000004820: D8EC0400 2E000004
	ds_read_b64 v[48:49], v4 offset:1152                       // 000000004828: D8EC0480 30000004
	v_mfma_i32_16x16x32_i8 v[232:235], a[118:119], v[174:175], v[232:235]// 000000004830: D3D700E8 0FA35D76
	v_mfma_i32_16x16x32_i8 v[232:235], a[120:121], v[176:177], v[232:235]// 000000004838: D3D700E8 0FA36178
	ds_read_b64 v[50:51], v4 offset:1280                       // 000000004840: D8EC0500 32000004
	ds_read_b64 v[52:53], v4 offset:1408                       // 000000004848: D8EC0580 34000004
	v_mfma_i32_16x16x32_i8 v[232:235], a[122:123], v[178:179], v[232:235]// 000000004850: D3D700E8 0FA3657A
	buffer_load_dwordx4 a[36:39], v38, s[24:27], 0 offen offset:1024// 000000004858: E05C1400 80862426
	v_mfma_i32_16x16x32_i8 v[232:235], a[124:125], v[180:181], v[232:235]// 000000004860: D3D700E8 0FA3697C
	ds_read_b64 v[54:55], v4 offset:1536                       // 000000004868: D8EC0600 36000004
	ds_read_b64 v[56:57], v4 offset:1664                       // 000000004870: D8EC0680 38000004
	v_mfma_i32_16x16x32_i8 v[232:235], a[126:127], v[182:183], v[232:235]// 000000004878: D3D700E8 0FA36D7E
	v_cvt_f32_i32_e32 v236, v236                               // 000000004880: 7FD80BEC
	v_cvt_f32_i32_e32 v237, v237                               // 000000004884: 7FDA0BED
	v_cvt_f32_i32_e32 v238, v238                               // 000000004888: 7FDC0BEE
	v_cvt_f32_i32_e32 v239, v239                               // 00000000488C: 7FDE0BEF
	v_pk_fma_f32 v[76:77], v[236:237], v[242:243], v[76:77]    // 000000004890: D3B0404C 1D33E5EC
	v_pk_fma_f32 v[78:79], v[238:239], v[242:243], v[78:79]    // 000000004898: D3B0404E 1D3BE5EE
	v_mfma_i32_16x16x32_i8 v[236:239], a[112:113], v[184:185], 0// 0000000048A0: D3D700EC 0A037170
	ds_read_b64 v[58:59], v4 offset:1792                       // 0000000048A8: D8EC0700 3A000004
	ds_read_b64 v[60:61], v4 offset:1920                       // 0000000048B0: D8EC0780 3C000004
	v_mfma_i32_16x16x32_i8 v[236:239], a[114:115], v[186:187], v[236:239]// 0000000048B8: D3D700EC 0FB37572
	buffer_load_dwordx4 a[40:43], v38, s[24:27], 0 offen offset:2048// 0000000048C0: E05C1800 80862826
	v_mfma_i32_16x16x32_i8 v[236:239], a[116:117], v[188:189], v[236:239]// 0000000048C8: D3D700EC 0FB37974
	v_mfma_i32_16x16x32_i8 v[236:239], a[118:119], v[190:191], v[236:239]// 0000000048D0: D3D700EC 0FB37D76
	v_mfma_i32_16x16x32_i8 v[236:239], a[120:121], v[192:193], v[236:239]// 0000000048D8: D3D700EC 0FB38178
	v_mfma_i32_16x16x32_i8 v[236:239], a[122:123], v[194:195], v[236:239]// 0000000048E0: D3D700EC 0FB3857A
	buffer_load_dwordx4 a[44:47], v38, s[24:27], 0 offen offset:3072// 0000000048E8: E05C1C00 80862C26
	s_waitcnt lgkmcnt(0)                                       // 0000000048F0: BF8CC07F
	v_max3_f32 v22, |v46|, |v48|, v22                          // 0000000048F4: D1D30316 045A612E
	v_max3_f32 v23, |v47|, |v49|, v23                          // 0000000048FC: D1D30317 045E632F
	v_max3_f32 v22, |v50|, |v52|, v22                          // 000000004904: D1D30316 045A6932
	v_max3_f32 v23, |v51|, |v53|, v23                          // 00000000490C: D1D30317 045E6B33
	v_max3_f32 v22, |v54|, |v56|, v22                          // 000000004914: D1D30316 045A7136
	v_max3_f32 v23, |v55|, |v57|, v23                          // 00000000491C: D1D30317 045E7337
	v_max3_f32 v22, |v58|, |v60|, v22                          // 000000004924: D1D30316 045A793A
	v_max3_f32 v23, |v59|, |v61|, v23                          // 00000000492C: D1D30317 045E7B3B
	v_mov_b32_e32 v42, 0x42fe0000                              // 000000004934: 7E5402FF 42FE0000
	v_rcp_f32_e32 v22, v22                                     // 00000000493C: 7E2C4516
	v_rcp_f32_e32 v23, v23                                     // 000000004940: 7E2E4517
	s_nop 1                                                    // 000000004944: BF800001
	v_mul_f32_e32 v22, v42, v22                                // 000000004948: 0A2C2D2A
	v_mul_f32_e32 v23, v42, v23                                // 00000000494C: 0A2E2F2A
	v_rcp_f32_e32 v26, v22                                     // 000000004950: 7E344516
	v_rcp_f32_e32 v27, v23                                     // 000000004954: 7E364517
	v_mov_b32_e32 v42, v22                                     // 000000004958: 7E540316
	v_mov_b32_e32 v43, v22                                     // 00000000495C: 7E560316
	v_mov_b32_e32 v44, v23                                     // 000000004960: 7E580317
	v_mov_b32_e32 v45, v23                                     // 000000004964: 7E5A0317
	v_pk_mul_f32 v[200:201], v[42:43], v[200:201]              // 000000004968: D3B140C8 1803912A
	v_pk_mul_f32 v[202:203], v[42:43], v[202:203]              // 000000004970: D3B140CA 1803952A
	v_cvt_i32_f32_e32 v200, v200                               // 000000004978: 7F9011C8
	v_cvt_i32_f32_e32 v201, v201                               // 00000000497C: 7F9211C9
	v_cvt_i32_f32_e32 v202, v202                               // 000000004980: 7F9411CA
	v_cvt_i32_f32_e32 v203, v203                               // 000000004984: 7F9611CB
	v_perm_b32 v200, v201, v200, s53                           // 000000004988: D1ED00C8 00D791C9
	v_perm_b32 v200, v202, v200, s54                           // 000000004990: D1ED00C8 00DB91CA
	v_perm_b32 v200, v203, v200, s55                           // 000000004998: D1ED00C8 00DF91CB
	v_pk_mul_f32 v[204:205], v[44:45], v[204:205]              // 0000000049A0: D3B140CC 1803992C
	v_pk_mul_f32 v[206:207], v[44:45], v[206:207]              // 0000000049A8: D3B140CE 18039D2C
	v_cvt_i32_f32_e32 v204, v204                               // 0000000049B0: 7F9811CC
	v_cvt_i32_f32_e32 v205, v205                               // 0000000049B4: 7F9A11CD
	v_cvt_i32_f32_e32 v206, v206                               // 0000000049B8: 7F9C11CE
	v_cvt_i32_f32_e32 v207, v207                               // 0000000049BC: 7F9E11CF
	v_perm_b32 v201, v205, v204, s53                           // 0000000049C0: D1ED00C9 00D799CD
	v_perm_b32 v201, v206, v201, s54                           // 0000000049C8: D1ED00C9 00DB93CE
	v_perm_b32 v201, v207, v201, s55                           // 0000000049D0: D1ED00C9 00DF93CF
	v_pk_mul_f32 v[208:209], v[42:43], v[208:209]              // 0000000049D8: D3B140D0 1803A12A
	v_pk_mul_f32 v[210:211], v[42:43], v[210:211]              // 0000000049E0: D3B140D2 1803A52A
	v_cvt_i32_f32_e32 v208, v208                               // 0000000049E8: 7FA011D0
	v_cvt_i32_f32_e32 v209, v209                               // 0000000049EC: 7FA211D1
	v_cvt_i32_f32_e32 v210, v210                               // 0000000049F0: 7FA411D2
	v_cvt_i32_f32_e32 v211, v211                               // 0000000049F4: 7FA611D3
	v_perm_b32 v202, v209, v208, s53                           // 0000000049F8: D1ED00CA 00D7A1D1
	v_perm_b32 v202, v210, v202, s54                           // 000000004A00: D1ED00CA 00DB95D2
	v_perm_b32 v202, v211, v202, s55                           // 000000004A08: D1ED00CA 00DF95D3
	v_pk_mul_f32 v[212:213], v[44:45], v[212:213]              // 000000004A10: D3B140D4 1803A92C
	v_pk_mul_f32 v[214:215], v[44:45], v[214:215]              // 000000004A18: D3B140D6 1803AD2C
	v_cvt_i32_f32_e32 v212, v212                               // 000000004A20: 7FA811D4
	v_cvt_i32_f32_e32 v213, v213                               // 000000004A24: 7FAA11D5
	v_cvt_i32_f32_e32 v214, v214                               // 000000004A28: 7FAC11D6
	v_cvt_i32_f32_e32 v215, v215                               // 000000004A2C: 7FAE11D7
	v_perm_b32 v203, v213, v212, s53                           // 000000004A30: D1ED00CB 00D7A9D5
	v_perm_b32 v203, v214, v203, s54                           // 000000004A38: D1ED00CB 00DB97D6
	v_perm_b32 v203, v215, v203, s55                           // 000000004A40: D1ED00CB 00DF97D7
	v_pk_mul_f32 v[216:217], v[42:43], v[216:217]              // 000000004A48: D3B140D8 1803B12A
	v_pk_mul_f32 v[218:219], v[42:43], v[218:219]              // 000000004A50: D3B140DA 1803B52A
	v_cvt_i32_f32_e32 v216, v216                               // 000000004A58: 7FB011D8
	v_cvt_i32_f32_e32 v217, v217                               // 000000004A5C: 7FB211D9
	v_cvt_i32_f32_e32 v218, v218                               // 000000004A60: 7FB411DA
	v_cvt_i32_f32_e32 v219, v219                               // 000000004A64: 7FB611DB
	v_perm_b32 v204, v217, v216, s53                           // 000000004A68: D1ED00CC 00D7B1D9
	v_perm_b32 v204, v218, v204, s54                           // 000000004A70: D1ED00CC 00DB99DA
	v_perm_b32 v204, v219, v204, s55                           // 000000004A78: D1ED00CC 00DF99DB
	v_pk_mul_f32 v[220:221], v[44:45], v[220:221]              // 000000004A80: D3B140DC 1803B92C
	v_pk_mul_f32 v[222:223], v[44:45], v[222:223]              // 000000004A88: D3B140DE 1803BD2C
	v_cvt_i32_f32_e32 v220, v220                               // 000000004A90: 7FB811DC
	v_cvt_i32_f32_e32 v221, v221                               // 000000004A94: 7FBA11DD
	v_cvt_i32_f32_e32 v222, v222                               // 000000004A98: 7FBC11DE
	v_cvt_i32_f32_e32 v223, v223                               // 000000004A9C: 7FBE11DF
	v_perm_b32 v205, v221, v220, s53                           // 000000004AA0: D1ED00CD 00D7B9DD
	v_perm_b32 v205, v222, v205, s54                           // 000000004AA8: D1ED00CD 00DB9BDE
	v_perm_b32 v205, v223, v205, s55                           // 000000004AB0: D1ED00CD 00DF9BDF
	v_pk_mul_f32 v[224:225], v[42:43], v[224:225]              // 000000004AB8: D3B140E0 1803C12A
	v_pk_mul_f32 v[226:227], v[42:43], v[226:227]              // 000000004AC0: D3B140E2 1803C52A
	v_cvt_i32_f32_e32 v224, v224                               // 000000004AC8: 7FC011E0
	v_cvt_i32_f32_e32 v225, v225                               // 000000004ACC: 7FC211E1
	v_cvt_i32_f32_e32 v226, v226                               // 000000004AD0: 7FC411E2
	v_cvt_i32_f32_e32 v227, v227                               // 000000004AD4: 7FC611E3
	v_perm_b32 v206, v225, v224, s53                           // 000000004AD8: D1ED00CE 00D7C1E1
	v_perm_b32 v206, v226, v206, s54                           // 000000004AE0: D1ED00CE 00DB9DE2
	v_perm_b32 v206, v227, v206, s55                           // 000000004AE8: D1ED00CE 00DF9DE3
	v_pk_mul_f32 v[228:229], v[44:45], v[228:229]              // 000000004AF0: D3B140E4 1803C92C
	v_pk_mul_f32 v[230:231], v[44:45], v[230:231]              // 000000004AF8: D3B140E6 1803CD2C
	v_cvt_i32_f32_e32 v228, v228                               // 000000004B00: 7FC811E4
	v_cvt_i32_f32_e32 v229, v229                               // 000000004B04: 7FCA11E5
	v_cvt_i32_f32_e32 v230, v230                               // 000000004B08: 7FCC11E6
	v_cvt_i32_f32_e32 v231, v231                               // 000000004B0C: 7FCE11E7
	v_perm_b32 v207, v229, v228, s53                           // 000000004B10: D1ED00CF 00D7C9E5
	v_perm_b32 v207, v230, v207, s54                           // 000000004B18: D1ED00CF 00DB9FE6
	v_perm_b32 v207, v231, v207, s55                           // 000000004B20: D1ED00CF 00DF9FE7
	v_mfma_i32_16x16x32_i8 v[236:239], a[124:125], v[196:197], v[236:239]// 000000004B28: D3D700EC 0FB3897C
	ds_write_b32 v12, v200 offset:2048                         // 000000004B30: D81A0800 0000C80C
	ds_write_b32 v12, v201 offset:6144                         // 000000004B38: D81A1800 0000C90C
	v_mfma_i32_16x16x32_i8 v[236:239], a[126:127], v[198:199], v[236:239]// 000000004B40: D3D700EC 0FB38D7E
	v_cvt_f32_i32_e32 v232, v232                               // 000000004B48: 7FD00BE8
	v_cvt_f32_i32_e32 v233, v233                               // 000000004B4C: 7FD20BE9
	v_cvt_f32_i32_e32 v234, v234                               // 000000004B50: 7FD40BEA
	v_cvt_f32_i32_e32 v235, v235                               // 000000004B54: 7FD60BEB
	v_pk_fma_f32 v[80:81], v[232:233], v[240:241], v[80:81]    // 000000004B58: D3B04050 1D43E1E8
	v_pk_fma_f32 v[82:83], v[234:235], v[240:241], v[82:83]    // 000000004B60: D3B04052 1D4BE1EA
	s_waitcnt vmcnt(16)                                        // 000000004B68: BF8C4F70
	v_mfma_i32_16x16x32_i8 v[232:235], a[128:129], v[168:169], 0// 000000004B6C: D3D700E8 0A035180
	ds_write_b32 v12, v202 offset:3072                         // 000000004B74: D81A0C00 0000CA0C
	ds_write_b32 v12, v203 offset:7168                         // 000000004B7C: D81A1C00 0000CB0C
	v_mfma_i32_16x16x32_i8 v[232:235], a[130:131], v[170:171], v[232:235]// 000000004B84: D3D700E8 0FA35582
	buffer_load_dwordx4 a[48:51], v39, s[24:27], 0 offen       // 000000004B8C: E05C1000 80863027
	v_mfma_i32_16x16x32_i8 v[232:235], a[132:133], v[172:173], v[232:235]// 000000004B94: D3D700E8 0FA35984
	ds_write_b32 v12, v204 offset:4096                         // 000000004B9C: D81A1000 0000CC0C
	ds_write_b32 v12, v205 offset:8192                         // 000000004BA4: D81A2000 0000CD0C
	v_mfma_i32_16x16x32_i8 v[232:235], a[134:135], v[174:175], v[232:235]// 000000004BAC: D3D700E8 0FA35D86
	v_mfma_i32_16x16x32_i8 v[232:235], a[136:137], v[176:177], v[232:235]// 000000004BB4: D3D700E8 0FA36188
	ds_write_b32 v12, v206 offset:5120                         // 000000004BBC: D81A1400 0000CE0C
	ds_write_b32 v12, v207 offset:9216                         // 000000004BC4: D81A2400 0000CF0C
	v_mfma_i32_16x16x32_i8 v[232:235], a[138:139], v[178:179], v[232:235]// 000000004BCC: D3D700E8 0FA3658A
	buffer_load_dwordx4 a[52:55], v39, s[24:27], 0 offen offset:1024// 000000004BD4: E05C1400 80863427
	v_mfma_i32_16x16x32_i8 v[232:235], a[140:141], v[180:181], v[232:235]// 000000004BDC: D3D700E8 0FA3698C
	v_mfma_i32_16x16x32_i8 v[232:235], a[142:143], v[182:183], v[232:235]// 000000004BE4: D3D700E8 0FA36D8E
	v_cvt_f32_i32_e32 v236, v236                               // 000000004BEC: 7FD80BEC
	v_cvt_f32_i32_e32 v237, v237                               // 000000004BF0: 7FDA0BED
	v_cvt_f32_i32_e32 v238, v238                               // 000000004BF4: 7FDC0BEE
	v_cvt_f32_i32_e32 v239, v239                               // 000000004BF8: 7FDE0BEF
	v_pk_fma_f32 v[84:85], v[236:237], v[242:243], v[84:85]    // 000000004BFC: D3B04054 1D53E5EC
	v_pk_fma_f32 v[86:87], v[238:239], v[242:243], v[86:87]    // 000000004C04: D3B04056 1D5BE5EE
	v_mfma_i32_16x16x32_i8 v[236:239], a[128:129], v[184:185], 0// 000000004C0C: D3D700EC 0A037180
	v_mfma_i32_16x16x32_i8 v[236:239], a[130:131], v[186:187], v[236:239]// 000000004C14: D3D700EC 0FB37582
	buffer_load_dwordx4 a[56:59], v39, s[24:27], 0 offen offset:2048// 000000004C1C: E05C1800 80863827
	v_mfma_i32_16x16x32_i8 v[236:239], a[132:133], v[188:189], v[236:239]// 000000004C24: D3D700EC 0FB37984
	v_mfma_i32_16x16x32_i8 v[236:239], a[134:135], v[190:191], v[236:239]// 000000004C2C: D3D700EC 0FB37D86
	s_waitcnt lgkmcnt(0)                                       // 000000004C34: BF8CC07F
	s_barrier                                                  // 000000004C38: BF8A0000
	v_mfma_i32_16x16x32_i8 v[236:239], a[136:137], v[192:193], v[236:239]// 000000004C3C: D3D700EC 0FB38188
	ds_read_b64 v[200:201], v13 offset:2048                    // 000000004C44: D8EC0800 C800000D
	ds_read_b64 v[202:203], v13 offset:2176                    // 000000004C4C: D8EC0880 CA00000D
	v_mfma_i32_16x16x32_i8 v[236:239], a[138:139], v[194:195], v[236:239]// 000000004C54: D3D700EC 0FB3858A
	buffer_load_dwordx4 a[60:63], v39, s[24:27], 0 offen offset:3072// 000000004C5C: E05C1C00 80863C27
	v_mfma_i32_16x16x32_i8 v[236:239], a[140:141], v[196:197], v[236:239]// 000000004C64: D3D700EC 0FB3898C
	ds_read_b64 v[204:205], v13 offset:3072                    // 000000004C6C: D8EC0C00 CC00000D
	ds_read_b64 v[206:207], v13 offset:3200                    // 000000004C74: D8EC0C80 CE00000D
	v_mfma_i32_16x16x32_i8 v[236:239], a[142:143], v[198:199], v[236:239]// 000000004C7C: D3D700EC 0FB38D8E
	v_cvt_f32_i32_e32 v232, v232                               // 000000004C84: 7FD00BE8
	v_cvt_f32_i32_e32 v233, v233                               // 000000004C88: 7FD20BE9
	v_cvt_f32_i32_e32 v234, v234                               // 000000004C8C: 7FD40BEA
	v_cvt_f32_i32_e32 v235, v235                               // 000000004C90: 7FD60BEB
	v_pk_fma_f32 v[88:89], v[232:233], v[240:241], v[88:89]    // 000000004C94: D3B04058 1D63E1E8
	v_pk_fma_f32 v[90:91], v[234:235], v[240:241], v[90:91]    // 000000004C9C: D3B0405A 1D6BE1EA
	s_waitcnt vmcnt(16)                                        // 000000004CA4: BF8C4F70
	v_mfma_i32_16x16x32_i8 v[232:235], a[144:145], v[168:169], 0// 000000004CA8: D3D700E8 0A035190
	ds_read_b64 v[208:209], v13 offset:4096                    // 000000004CB0: D8EC1000 D000000D
	ds_read_b64 v[210:211], v13 offset:4224                    // 000000004CB8: D8EC1080 D200000D
	v_mfma_i32_16x16x32_i8 v[232:235], a[146:147], v[170:171], v[232:235]// 000000004CC0: D3D700E8 0FA35592
	buffer_load_dwordx4 a[64:67], v40, s[24:27], 0 offen       // 000000004CC8: E05C1000 80864028
	v_mfma_i32_16x16x32_i8 v[232:235], a[148:149], v[172:173], v[232:235]// 000000004CD0: D3D700E8 0FA35994
	ds_read_b64 v[212:213], v13 offset:5120                    // 000000004CD8: D8EC1400 D400000D
	ds_read_b64 v[214:215], v13 offset:5248                    // 000000004CE0: D8EC1480 D600000D
	v_mfma_i32_16x16x32_i8 v[232:235], a[150:151], v[174:175], v[232:235]// 000000004CE8: D3D700E8 0FA35D96
	v_mfma_i32_16x16x32_i8 v[232:235], a[152:153], v[176:177], v[232:235]// 000000004CF0: D3D700E8 0FA36198
	ds_read_b64 v[216:217], v13 offset:6144                    // 000000004CF8: D8EC1800 D800000D
	ds_read_b64 v[218:219], v13 offset:6272                    // 000000004D00: D8EC1880 DA00000D
	v_mfma_i32_16x16x32_i8 v[232:235], a[154:155], v[178:179], v[232:235]// 000000004D08: D3D700E8 0FA3659A
	buffer_load_dwordx4 a[68:71], v40, s[24:27], 0 offen offset:1024// 000000004D10: E05C1400 80864428
	v_mfma_i32_16x16x32_i8 v[232:235], a[156:157], v[180:181], v[232:235]// 000000004D18: D3D700E8 0FA3699C
	ds_read_b64 v[220:221], v13 offset:7168                    // 000000004D20: D8EC1C00 DC00000D
	ds_read_b64 v[222:223], v13 offset:7296                    // 000000004D28: D8EC1C80 DE00000D
	v_mfma_i32_16x16x32_i8 v[232:235], a[158:159], v[182:183], v[232:235]// 000000004D30: D3D700E8 0FA36D9E
	v_cvt_f32_i32_e32 v236, v236                               // 000000004D38: 7FD80BEC
	v_cvt_f32_i32_e32 v237, v237                               // 000000004D3C: 7FDA0BED
	v_cvt_f32_i32_e32 v238, v238                               // 000000004D40: 7FDC0BEE
	v_cvt_f32_i32_e32 v239, v239                               // 000000004D44: 7FDE0BEF
	v_pk_fma_f32 v[92:93], v[236:237], v[242:243], v[92:93]    // 000000004D48: D3B0405C 1D73E5EC
	v_pk_fma_f32 v[94:95], v[238:239], v[242:243], v[94:95]    // 000000004D50: D3B0405E 1D7BE5EE
	v_mfma_i32_16x16x32_i8 v[236:239], a[144:145], v[184:185], 0// 000000004D58: D3D700EC 0A037190
	ds_read_b64 v[224:225], v13 offset:8192                    // 000000004D60: D8EC2000 E000000D
	ds_read_b64 v[226:227], v13 offset:8320                    // 000000004D68: D8EC2080 E200000D
	v_mfma_i32_16x16x32_i8 v[236:239], a[146:147], v[186:187], v[236:239]// 000000004D70: D3D700EC 0FB37592
	buffer_load_dwordx4 a[72:75], v40, s[24:27], 0 offen offset:2048// 000000004D78: E05C1800 80864828
	v_mfma_i32_16x16x32_i8 v[236:239], a[148:149], v[188:189], v[236:239]// 000000004D80: D3D700EC 0FB37994
	ds_read_b64 v[228:229], v13 offset:9216                    // 000000004D88: D8EC2400 E400000D
	ds_read_b64 v[230:231], v13 offset:9344                    // 000000004D90: D8EC2480 E600000D
	v_mfma_i32_16x16x32_i8 v[236:239], a[150:151], v[190:191], v[236:239]// 000000004D98: D3D700EC 0FB37D96
	v_mfma_i32_16x16x32_i8 v[236:239], a[152:153], v[192:193], v[236:239]// 000000004DA0: D3D700EC 0FB38198
	v_mfma_i32_16x16x32_i8 v[236:239], a[154:155], v[194:195], v[236:239]// 000000004DA8: D3D700EC 0FB3859A
	buffer_load_dwordx4 a[76:79], v40, s[24:27], 0 offen offset:3072// 000000004DB0: E05C1C00 80864C28
	v_mfma_i32_16x16x32_i8 v[236:239], a[156:157], v[196:197], v[236:239]// 000000004DB8: D3D700EC 0FB3899C
	v_mfma_i32_16x16x32_i8 v[236:239], a[158:159], v[198:199], v[236:239]// 000000004DC0: D3D700EC 0FB38D9E
	v_cvt_f32_i32_e32 v232, v232                               // 000000004DC8: 7FD00BE8
	v_cvt_f32_i32_e32 v233, v233                               // 000000004DCC: 7FD20BE9
	v_cvt_f32_i32_e32 v234, v234                               // 000000004DD0: 7FD40BEA
	v_cvt_f32_i32_e32 v235, v235                               // 000000004DD4: 7FD60BEB
	v_pk_fma_f32 v[96:97], v[232:233], v[240:241], v[96:97]    // 000000004DD8: D3B04060 1D83E1E8
	v_pk_fma_f32 v[98:99], v[234:235], v[240:241], v[98:99]    // 000000004DE0: D3B04062 1D8BE1EA
	v_cvt_f32_i32_e32 v236, v236                               // 000000004DE8: 7FD80BEC
	v_cvt_f32_i32_e32 v237, v237                               // 000000004DEC: 7FDA0BED
	v_cvt_f32_i32_e32 v238, v238                               // 000000004DF0: 7FDC0BEE
	v_cvt_f32_i32_e32 v239, v239                               // 000000004DF4: 7FDE0BEF
	v_pk_fma_f32 v[100:101], v[236:237], v[242:243], v[100:101]// 000000004DF8: D3B04064 1D93E5EC
	v_pk_fma_f32 v[102:103], v[238:239], v[242:243], v[102:103]// 000000004E00: D3B04066 1D9BE5EE
	s_add_u32 s60, 0x200, s80                                  // 000000004E08: 803C50FF 00000200
	s_cmp_lt_u32 s60, s81                                      // 000000004E10: BF0A513C
	s_cselect_b32 s57, s57, 0                                  // 000000004E14: 85398039
	s_cselect_b32 s91, s91, 0                                  // 000000004E18: 855B805B
	s_add_u32 s60, 0x200, s80                                  // 000000004E1C: 803C50FF 00000200
	s_cmp_lt_u32 s60, s81                                      // 000000004E24: BF0A513C
	s_cselect_b32 s58, s58, 0                                  // 000000004E28: 853A803A
	s_add_u32 s20, s57, s20                                    // 000000004E2C: 80141439
	s_addc_u32 s21, 0, s21                                     // 000000004E30: 82151580
	s_add_u32 s28, s91, s28                                    // 000000004E34: 801C1C5B
	s_addc_u32 s29, 0, s29                                     // 000000004E38: 821D1D80
	s_add_u32 s24, s58, s24                                    // 000000004E3C: 8018183A
	s_addc_u32 s25, 0, s25                                     // 000000004E40: 82191980
	s_add_u32 s92, s90, s92                                    // 000000004E44: 805C5C5A
	s_addc_u32 s93, 0, s93                                     // 000000004E48: 825D5D80
	s_addk_i32 s80, 0x100                                      // 000000004E4C: B7500100
	s_cmp_lt_i32 s80, s81                                      // 000000004E50: BF045150
	s_cbranch_scc0 label_0C39                                  // 000000004E54: BF840423
	v_mov_b32_e32 v240, v26                                    // 000000004E58: 7FE0031A
	v_mov_b32_e32 v242, v27                                    // 000000004E5C: 7FE4031B
	v_mov_b32_e32 v241, v240                                   // 000000004E60: 7FE203F0
	v_mov_b32_e32 v243, v242                                   // 000000004E64: 7FE603F2
	s_waitcnt vmcnt(12) lgkmcnt(0)                             // 000000004E68: BF8C007C
	s_barrier                                                  // 000000004E6C: BF8A0000
	v_mfma_i32_16x16x32_i8 v[232:235], a[0:1], v[200:201], 0   // 000000004E70: D3D700E8 0A039100
	v_mfma_i32_16x16x32_i8 v[232:235], a[2:3], v[202:203], v[232:235]// 000000004E78: D3D700E8 0FA39502
	buffer_load_dwordx4 a[80:83], v36, s[92:95], 0 offen       // 000000004E80: E05C1000 80975024
	v_mfma_i32_16x16x32_i8 v[232:235], a[4:5], v[204:205], v[232:235]// 000000004E88: D3D700E8 0FA39904
	v_mfma_i32_16x16x32_i8 v[232:235], a[6:7], v[206:207], v[232:235]// 000000004E90: D3D700E8 0FA39D06
	buffer_load_dword v28, s[20:23], 0 offen lds               // 000000004E98: E0511000 8005001C
	buffer_load_dword v28, s[20:23], 0 offen offset:256 lds    // 000000004EA0: E0511100 8005001C
	s_add_u32 m0, 0x820, s50                                   // 000000004EA8: 807C32FF 00000820
	v_mfma_i32_16x16x32_i8 v[232:235], a[8:9], v[208:209], v[232:235]// 000000004EB0: D3D700E8 0FA3A108
	v_mfma_i32_16x16x32_i8 v[232:235], a[10:11], v[210:211], v[232:235]// 000000004EB8: D3D700E8 0FA3A50A
	buffer_load_dwordx4 a[84:87], v36, s[92:95], 0 offen offset:1024// 000000004EC0: E05C1400 80975424
	v_mfma_i32_16x16x32_i8 v[232:235], a[12:13], v[212:213], v[232:235]// 000000004EC8: D3D700E8 0FA3A90C
	v_mfma_i32_16x16x32_i8 v[232:235], a[14:15], v[214:215], v[232:235]// 000000004ED0: D3D700E8 0FA3AD0E
	buffer_load_dword v29, s[20:23], 0 offen lds               // 000000004ED8: E0511000 8005001D
	buffer_load_dword v29, s[20:23], 0 offen offset:256 lds    // 000000004EE0: E0511100 8005001D
	s_add_u32 m0, 0x1040, s50                                  // 000000004EE8: 807C32FF 00001040
	v_mfma_i32_16x16x32_i8 v[236:239], a[0:1], v[216:217], 0   // 000000004EF0: D3D700EC 0A03B100
	v_mfma_i32_16x16x32_i8 v[236:239], a[2:3], v[218:219], v[236:239]// 000000004EF8: D3D700EC 0FB3B502
	buffer_load_dwordx4 a[88:91], v36, s[92:95], 0 offen offset:2048// 000000004F00: E05C1800 80975824
	v_mfma_i32_16x16x32_i8 v[236:239], a[4:5], v[220:221], v[236:239]// 000000004F08: D3D700EC 0FB3B904
	v_mfma_i32_16x16x32_i8 v[236:239], a[6:7], v[222:223], v[236:239]// 000000004F10: D3D700EC 0FB3BD06
	buffer_load_dword v30, s[20:23], 0 offen lds               // 000000004F18: E0511000 8005001E
	buffer_load_dword v30, s[20:23], 0 offen offset:256 lds    // 000000004F20: E0511100 8005001E
	s_add_u32 m0, 0x1860, s50                                  // 000000004F28: 807C32FF 00001860
	v_mfma_i32_16x16x32_i8 v[236:239], a[8:9], v[224:225], v[236:239]// 000000004F30: D3D700EC 0FB3C108
	v_mfma_i32_16x16x32_i8 v[236:239], a[10:11], v[226:227], v[236:239]// 000000004F38: D3D700EC 0FB3C50A
	buffer_load_dwordx4 a[92:95], v36, s[92:95], 0 offen offset:3072// 000000004F40: E05C1C00 80975C24
	v_mfma_i32_16x16x32_i8 v[236:239], a[12:13], v[228:229], v[236:239]// 000000004F48: D3D700EC 0FB3C90C
	v_mfma_i32_16x16x32_i8 v[236:239], a[14:15], v[230:231], v[236:239]// 000000004F50: D3D700EC 0FB3CD0E
	buffer_load_dword v31, s[20:23], 0 offen lds               // 000000004F58: E0511000 8005001F
	buffer_load_dword v31, s[20:23], 0 offen offset:256 lds    // 000000004F60: E0511100 8005001F
	s_add_u32 m0, 0x2080, s50                                  // 000000004F68: 807C32FF 00002080
	v_cvt_f32_i32_e32 v232, v232                               // 000000004F70: 7FD00BE8
	v_cvt_f32_i32_e32 v233, v233                               // 000000004F74: 7FD20BE9
	v_cvt_f32_i32_e32 v234, v234                               // 000000004F78: 7FD40BEA
	v_cvt_f32_i32_e32 v235, v235                               // 000000004F7C: 7FD60BEB
	v_pk_fma_f32 v[128:129], v[232:233], v[240:241], v[128:129]// 000000004F80: D3B04080 1E03E1E8
	v_pk_fma_f32 v[130:131], v[234:235], v[240:241], v[130:131]// 000000004F88: D3B04082 1E0BE1EA
	v_mfma_i32_16x16x32_i8 v[232:235], a[16:17], v[200:201], 0 // 000000004F90: D3D700E8 0A039110
	v_mfma_i32_16x16x32_i8 v[232:235], a[18:19], v[202:203], v[232:235]// 000000004F98: D3D700E8 0FA39512
	buffer_load_dwordx4 a[96:99], v37, s[92:95], 0 offen       // 000000004FA0: E05C1000 80976025
	v_mfma_i32_16x16x32_i8 v[232:235], a[20:21], v[204:205], v[232:235]// 000000004FA8: D3D700E8 0FA39914
	v_mfma_i32_16x16x32_i8 v[232:235], a[22:23], v[206:207], v[232:235]// 000000004FB0: D3D700E8 0FA39D16
	buffer_load_dword v32, s[20:23], 0 offen lds               // 000000004FB8: E0511000 80050020
	buffer_load_dword v32, s[20:23], 0 offen offset:256 lds    // 000000004FC0: E0511100 80050020
	s_add_u32 m0, 0x28a0, s50                                  // 000000004FC8: 807C32FF 000028A0
	v_mfma_i32_16x16x32_i8 v[232:235], a[24:25], v[208:209], v[232:235]// 000000004FD0: D3D700E8 0FA3A118
	v_mfma_i32_16x16x32_i8 v[232:235], a[26:27], v[210:211], v[232:235]// 000000004FD8: D3D700E8 0FA3A51A
	buffer_load_dwordx4 a[100:103], v37, s[92:95], 0 offen offset:1024// 000000004FE0: E05C1400 80976425
	v_mfma_i32_16x16x32_i8 v[232:235], a[28:29], v[212:213], v[232:235]// 000000004FE8: D3D700E8 0FA3A91C
	v_mfma_i32_16x16x32_i8 v[232:235], a[30:31], v[214:215], v[232:235]// 000000004FF0: D3D700E8 0FA3AD1E
	buffer_load_dword v33, s[20:23], 0 offen lds               // 000000004FF8: E0511000 80050021
	buffer_load_dword v33, s[20:23], 0 offen offset:256 lds    // 000000005000: E0511100 80050021
	s_add_u32 m0, 0x30c0, s50                                  // 000000005008: 807C32FF 000030C0
	v_cvt_f32_i32_e32 v236, v236                               // 000000005010: 7FD80BEC
	v_cvt_f32_i32_e32 v237, v237                               // 000000005014: 7FDA0BED
	v_cvt_f32_i32_e32 v238, v238                               // 000000005018: 7FDC0BEE
	v_cvt_f32_i32_e32 v239, v239                               // 00000000501C: 7FDE0BEF
	v_pk_fma_f32 v[132:133], v[236:237], v[242:243], v[132:133]// 000000005020: D3B04084 1E13E5EC
	v_pk_fma_f32 v[134:135], v[238:239], v[242:243], v[134:135]// 000000005028: D3B04086 1E1BE5EE
	v_mfma_i32_16x16x32_i8 v[236:239], a[16:17], v[216:217], 0 // 000000005030: D3D700EC 0A03B110
	v_mfma_i32_16x16x32_i8 v[236:239], a[18:19], v[218:219], v[236:239]// 000000005038: D3D700EC 0FB3B512
	buffer_load_dwordx4 a[104:107], v37, s[92:95], 0 offen offset:2048// 000000005040: E05C1800 80976825
	v_mfma_i32_16x16x32_i8 v[236:239], a[20:21], v[220:221], v[236:239]// 000000005048: D3D700EC 0FB3B914
	v_mfma_i32_16x16x32_i8 v[236:239], a[22:23], v[222:223], v[236:239]// 000000005050: D3D700EC 0FB3BD16
	buffer_load_dword v34, s[20:23], 0 offen lds               // 000000005058: E0511000 80050022
	buffer_load_dword v34, s[20:23], 0 offen offset:256 lds    // 000000005060: E0511100 80050022
	s_add_u32 m0, 0x38e0, s50                                  // 000000005068: 807C32FF 000038E0
	v_mfma_i32_16x16x32_i8 v[236:239], a[24:25], v[224:225], v[236:239]// 000000005070: D3D700EC 0FB3C118
	v_mfma_i32_16x16x32_i8 v[236:239], a[26:27], v[226:227], v[236:239]// 000000005078: D3D700EC 0FB3C51A
	buffer_load_dwordx4 a[108:111], v37, s[92:95], 0 offen offset:3072// 000000005080: E05C1C00 80976C25
	v_mfma_i32_16x16x32_i8 v[236:239], a[28:29], v[228:229], v[236:239]// 000000005088: D3D700EC 0FB3C91C
	v_mfma_i32_16x16x32_i8 v[236:239], a[30:31], v[230:231], v[236:239]// 000000005090: D3D700EC 0FB3CD1E
	buffer_load_dword v35, s[20:23], 0 offen lds               // 000000005098: E0511000 80050023
	buffer_load_dword v35, s[20:23], 0 offen offset:256 lds    // 0000000050A0: E0511100 80050023
	s_add_u32 m0, 0, s51                                       // 0000000050A8: 807C3380
	buffer_load_dword v14, v6, s[28:31], 0 offen               // 0000000050AC: E0501000 80070E06
	v_cvt_f32_i32_e32 v232, v232                               // 0000000050B4: 7FD00BE8
	v_cvt_f32_i32_e32 v233, v233                               // 0000000050B8: 7FD20BE9
	v_cvt_f32_i32_e32 v234, v234                               // 0000000050BC: 7FD40BEA
	v_cvt_f32_i32_e32 v235, v235                               // 0000000050C0: 7FD60BEB
	v_pk_fma_f32 v[136:137], v[232:233], v[240:241], v[136:137]// 0000000050C4: D3B04088 1E23E1E8
	v_pk_fma_f32 v[138:139], v[234:235], v[240:241], v[138:139]// 0000000050CC: D3B0408A 1E2BE1EA
	s_waitcnt vmcnt(33)                                        // 0000000050D4: BF8C8F71
	v_mfma_i32_16x16x32_i8 v[232:235], a[32:33], v[200:201], 0 // 0000000050D8: D3D700E8 0A039120
	v_mfma_i32_16x16x32_i8 v[232:235], a[34:35], v[202:203], v[232:235]// 0000000050E0: D3D700E8 0FA39522
	buffer_load_dwordx4 a[112:115], v38, s[92:95], 0 offen     // 0000000050E8: E05C1000 80977026
	v_mfma_i32_16x16x32_i8 v[232:235], a[36:37], v[204:205], v[232:235]// 0000000050F0: D3D700E8 0FA39924
	v_mfma_i32_16x16x32_i8 v[232:235], a[38:39], v[206:207], v[232:235]// 0000000050F8: D3D700E8 0FA39D26
	v_mfma_i32_16x16x32_i8 v[232:235], a[40:41], v[208:209], v[232:235]// 000000005100: D3D700E8 0FA3A128
	v_mfma_i32_16x16x32_i8 v[232:235], a[42:43], v[210:211], v[232:235]// 000000005108: D3D700E8 0FA3A52A
	buffer_load_dwordx4 a[116:119], v38, s[92:95], 0 offen offset:1024// 000000005110: E05C1400 80977426
	v_mfma_i32_16x16x32_i8 v[232:235], a[44:45], v[212:213], v[232:235]// 000000005118: D3D700E8 0FA3A92C
	v_mfma_i32_16x16x32_i8 v[232:235], a[46:47], v[214:215], v[232:235]// 000000005120: D3D700E8 0FA3AD2E
	v_cvt_f32_i32_e32 v236, v236                               // 000000005128: 7FD80BEC
	v_cvt_f32_i32_e32 v237, v237                               // 00000000512C: 7FDA0BED
	v_cvt_f32_i32_e32 v238, v238                               // 000000005130: 7FDC0BEE
	v_cvt_f32_i32_e32 v239, v239                               // 000000005134: 7FDE0BEF
	v_pk_fma_f32 v[140:141], v[236:237], v[242:243], v[140:141]// 000000005138: D3B0408C 1E33E5EC
	v_pk_fma_f32 v[142:143], v[238:239], v[242:243], v[142:143]// 000000005140: D3B0408E 1E3BE5EE
	v_mfma_i32_16x16x32_i8 v[236:239], a[32:33], v[216:217], 0 // 000000005148: D3D700EC 0A03B120
	v_mfma_i32_16x16x32_i8 v[236:239], a[34:35], v[218:219], v[236:239]// 000000005150: D3D700EC 0FB3B522
	buffer_load_dwordx4 a[120:123], v38, s[92:95], 0 offen offset:2048// 000000005158: E05C1800 80977826
	v_mfma_i32_16x16x32_i8 v[236:239], a[36:37], v[220:221], v[236:239]// 000000005160: D3D700EC 0FB3B924
	v_mfma_i32_16x16x32_i8 v[236:239], a[38:39], v[222:223], v[236:239]// 000000005168: D3D700EC 0FB3BD26
	v_mfma_i32_16x16x32_i8 v[236:239], a[40:41], v[224:225], v[236:239]// 000000005170: D3D700EC 0FB3C128
	v_mfma_i32_16x16x32_i8 v[236:239], a[42:43], v[226:227], v[236:239]// 000000005178: D3D700EC 0FB3C52A
	buffer_load_dwordx4 a[124:127], v38, s[92:95], 0 offen offset:3072// 000000005180: E05C1C00 80977C26
	v_mfma_i32_16x16x32_i8 v[236:239], a[44:45], v[228:229], v[236:239]// 000000005188: D3D700EC 0FB3C92C
	v_mfma_i32_16x16x32_i8 v[236:239], a[46:47], v[230:231], v[236:239]// 000000005190: D3D700EC 0FB3CD2E
	v_cvt_f32_i32_e32 v232, v232                               // 000000005198: 7FD00BE8
	v_cvt_f32_i32_e32 v233, v233                               // 00000000519C: 7FD20BE9
	v_cvt_f32_i32_e32 v234, v234                               // 0000000051A0: 7FD40BEA
	v_cvt_f32_i32_e32 v235, v235                               // 0000000051A4: 7FD60BEB
	v_pk_fma_f32 v[144:145], v[232:233], v[240:241], v[144:145]// 0000000051A8: D3B04090 1E43E1E8
	v_pk_fma_f32 v[146:147], v[234:235], v[240:241], v[146:147]// 0000000051B0: D3B04092 1E4BE1EA
	s_waitcnt vmcnt(33)                                        // 0000000051B8: BF8C8F71
	v_mfma_i32_16x16x32_i8 v[232:235], a[48:49], v[200:201], 0 // 0000000051BC: D3D700E8 0A039130
	v_mfma_i32_16x16x32_i8 v[232:235], a[50:51], v[202:203], v[232:235]// 0000000051C4: D3D700E8 0FA39532
	buffer_load_dwordx4 a[128:131], v39, s[92:95], 0 offen     // 0000000051CC: E05C1000 80978027
	v_mfma_i32_16x16x32_i8 v[232:235], a[52:53], v[204:205], v[232:235]// 0000000051D4: D3D700E8 0FA39934
	v_mfma_i32_16x16x32_i8 v[232:235], a[54:55], v[206:207], v[232:235]// 0000000051DC: D3D700E8 0FA39D36
	v_mfma_i32_16x16x32_i8 v[232:235], a[56:57], v[208:209], v[232:235]// 0000000051E4: D3D700E8 0FA3A138
	v_mfma_i32_16x16x32_i8 v[232:235], a[58:59], v[210:211], v[232:235]// 0000000051EC: D3D700E8 0FA3A53A
	buffer_load_dwordx4 a[132:135], v39, s[92:95], 0 offen offset:1024// 0000000051F4: E05C1400 80978427
	v_mfma_i32_16x16x32_i8 v[232:235], a[60:61], v[212:213], v[232:235]// 0000000051FC: D3D700E8 0FA3A93C
	v_mfma_i32_16x16x32_i8 v[232:235], a[62:63], v[214:215], v[232:235]// 000000005204: D3D700E8 0FA3AD3E
	v_cvt_f32_i32_e32 v236, v236                               // 00000000520C: 7FD80BEC
	v_cvt_f32_i32_e32 v237, v237                               // 000000005210: 7FDA0BED
	v_cvt_f32_i32_e32 v238, v238                               // 000000005214: 7FDC0BEE
	v_cvt_f32_i32_e32 v239, v239                               // 000000005218: 7FDE0BEF
	v_pk_fma_f32 v[148:149], v[236:237], v[242:243], v[148:149]// 00000000521C: D3B04094 1E53E5EC
	v_pk_fma_f32 v[150:151], v[238:239], v[242:243], v[150:151]// 000000005224: D3B04096 1E5BE5EE
	v_mfma_i32_16x16x32_i8 v[236:239], a[48:49], v[216:217], 0 // 00000000522C: D3D700EC 0A03B130
	v_mfma_i32_16x16x32_i8 v[236:239], a[50:51], v[218:219], v[236:239]// 000000005234: D3D700EC 0FB3B532
	buffer_load_dwordx4 a[136:139], v39, s[92:95], 0 offen offset:2048// 00000000523C: E05C1800 80978827
	v_mfma_i32_16x16x32_i8 v[236:239], a[52:53], v[220:221], v[236:239]// 000000005244: D3D700EC 0FB3B934
	v_mfma_i32_16x16x32_i8 v[236:239], a[54:55], v[222:223], v[236:239]// 00000000524C: D3D700EC 0FB3BD36
	v_mfma_i32_16x16x32_i8 v[236:239], a[56:57], v[224:225], v[236:239]// 000000005254: D3D700EC 0FB3C138
	v_mfma_i32_16x16x32_i8 v[236:239], a[58:59], v[226:227], v[236:239]// 00000000525C: D3D700EC 0FB3C53A
	buffer_load_dwordx4 a[140:143], v39, s[92:95], 0 offen offset:3072// 000000005264: E05C1C00 80978C27
	v_mfma_i32_16x16x32_i8 v[236:239], a[60:61], v[228:229], v[236:239]// 00000000526C: D3D700EC 0FB3C93C
	v_mfma_i32_16x16x32_i8 v[236:239], a[62:63], v[230:231], v[236:239]// 000000005274: D3D700EC 0FB3CD3E
	v_cvt_f32_i32_e32 v232, v232                               // 00000000527C: 7FD00BE8
	v_cvt_f32_i32_e32 v233, v233                               // 000000005280: 7FD20BE9
	v_cvt_f32_i32_e32 v234, v234                               // 000000005284: 7FD40BEA
	v_cvt_f32_i32_e32 v235, v235                               // 000000005288: 7FD60BEB
	v_pk_fma_f32 v[152:153], v[232:233], v[240:241], v[152:153]// 00000000528C: D3B04098 1E63E1E8
	v_pk_fma_f32 v[154:155], v[234:235], v[240:241], v[154:155]// 000000005294: D3B0409A 1E6BE1EA
	s_waitcnt vmcnt(33)                                        // 00000000529C: BF8C8F71
	v_mfma_i32_16x16x32_i8 v[232:235], a[64:65], v[200:201], 0 // 0000000052A0: D3D700E8 0A039140
	v_mfma_i32_16x16x32_i8 v[232:235], a[66:67], v[202:203], v[232:235]// 0000000052A8: D3D700E8 0FA39542
	buffer_load_dwordx4 a[144:147], v40, s[92:95], 0 offen     // 0000000052B0: E05C1000 80979028
	v_mfma_i32_16x16x32_i8 v[232:235], a[68:69], v[204:205], v[232:235]// 0000000052B8: D3D700E8 0FA39944
	v_mfma_i32_16x16x32_i8 v[232:235], a[70:71], v[206:207], v[232:235]// 0000000052C0: D3D700E8 0FA39D46
	v_mfma_i32_16x16x32_i8 v[232:235], a[72:73], v[208:209], v[232:235]// 0000000052C8: D3D700E8 0FA3A148
	v_mfma_i32_16x16x32_i8 v[232:235], a[74:75], v[210:211], v[232:235]// 0000000052D0: D3D700E8 0FA3A54A
	buffer_load_dwordx4 a[148:151], v40, s[92:95], 0 offen offset:1024// 0000000052D8: E05C1400 80979428
	v_mfma_i32_16x16x32_i8 v[232:235], a[76:77], v[212:213], v[232:235]// 0000000052E0: D3D700E8 0FA3A94C
	v_mfma_i32_16x16x32_i8 v[232:235], a[78:79], v[214:215], v[232:235]// 0000000052E8: D3D700E8 0FA3AD4E
	v_cvt_f32_i32_e32 v236, v236                               // 0000000052F0: 7FD80BEC
	v_cvt_f32_i32_e32 v237, v237                               // 0000000052F4: 7FDA0BED
	v_cvt_f32_i32_e32 v238, v238                               // 0000000052F8: 7FDC0BEE
	v_cvt_f32_i32_e32 v239, v239                               // 0000000052FC: 7FDE0BEF
	v_pk_fma_f32 v[156:157], v[236:237], v[242:243], v[156:157]// 000000005300: D3B0409C 1E73E5EC
	v_pk_fma_f32 v[158:159], v[238:239], v[242:243], v[158:159]// 000000005308: D3B0409E 1E7BE5EE
	v_mfma_i32_16x16x32_i8 v[236:239], a[64:65], v[216:217], 0 // 000000005310: D3D700EC 0A03B140
	v_mfma_i32_16x16x32_i8 v[236:239], a[66:67], v[218:219], v[236:239]// 000000005318: D3D700EC 0FB3B542
	buffer_load_dwordx4 a[152:155], v40, s[92:95], 0 offen offset:2048// 000000005320: E05C1800 80979828
	v_mfma_i32_16x16x32_i8 v[236:239], a[68:69], v[220:221], v[236:239]// 000000005328: D3D700EC 0FB3B944
	v_mfma_i32_16x16x32_i8 v[236:239], a[70:71], v[222:223], v[236:239]// 000000005330: D3D700EC 0FB3BD46
	v_mfma_i32_16x16x32_i8 v[236:239], a[72:73], v[224:225], v[236:239]// 000000005338: D3D700EC 0FB3C148
	v_mfma_i32_16x16x32_i8 v[236:239], a[74:75], v[226:227], v[236:239]// 000000005340: D3D700EC 0FB3C54A
	buffer_load_dwordx4 a[156:159], v40, s[92:95], 0 offen offset:3072// 000000005348: E05C1C00 80979C28
	v_mfma_i32_16x16x32_i8 v[236:239], a[76:77], v[228:229], v[236:239]// 000000005350: D3D700EC 0FB3C94C
	v_mfma_i32_16x16x32_i8 v[236:239], a[78:79], v[230:231], v[236:239]// 000000005358: D3D700EC 0FB3CD4E
	v_cvt_f32_i32_e32 v232, v232                               // 000000005360: 7FD00BE8
	v_cvt_f32_i32_e32 v233, v233                               // 000000005364: 7FD20BE9
	v_cvt_f32_i32_e32 v234, v234                               // 000000005368: 7FD40BEA
	v_cvt_f32_i32_e32 v235, v235                               // 00000000536C: 7FD60BEB
	v_pk_fma_f32 v[160:161], v[232:233], v[240:241], v[160:161]// 000000005370: D3B040A0 1E83E1E8
	v_pk_fma_f32 v[162:163], v[234:235], v[240:241], v[162:163]// 000000005378: D3B040A2 1E8BE1EA
	v_cvt_f32_i32_e32 v236, v236                               // 000000005380: 7FD80BEC
	v_cvt_f32_i32_e32 v237, v237                               // 000000005384: 7FDA0BED
	v_cvt_f32_i32_e32 v238, v238                               // 000000005388: 7FDC0BEE
	v_cvt_f32_i32_e32 v239, v239                               // 00000000538C: 7FDE0BEF
	v_pk_fma_f32 v[164:165], v[236:237], v[242:243], v[164:165]// 000000005390: D3B040A4 1E93E5EC
	v_pk_fma_f32 v[166:167], v[238:239], v[242:243], v[166:167]// 000000005398: D3B040A6 1E9BE5EE
	s_waitcnt vmcnt(12)                                        // 0000000053A0: BF8C0F7C
	s_barrier                                                  // 0000000053A4: BF8A0000
	v_mfma_i32_16x16x32_i8 v[232:235], a[80:81], v[200:201], 0 // 0000000053A8: D3D700E8 0A039150
	ds_read_b64 v[168:169], v2 offset:2048                     // 0000000053B0: D8EC0800 A8000002
	ds_read_b64 v[172:173], v2 offset:10368                    // 0000000053B8: D8EC2880 AC000002
	v_mfma_i32_16x16x32_i8 v[232:235], a[82:83], v[202:203], v[232:235]// 0000000053C0: D3D700E8 0FA39552
	buffer_load_dwordx4 a[0:3], v36, s[24:27], 0 offen         // 0000000053C8: E05C1000 80860024
	v_mfma_i32_16x16x32_i8 v[232:235], a[84:85], v[204:205], v[232:235]// 0000000053D0: D3D700E8 0FA39954
	ds_read_b64 v[176:177], v2 offset:2176                     // 0000000053D8: D8EC0880 B0000002
	ds_read_b64 v[180:181], v2 offset:10496                    // 0000000053E0: D8EC2900 B4000002
	v_mfma_i32_16x16x32_i8 v[232:235], a[86:87], v[206:207], v[232:235]// 0000000053E8: D3D700E8 0FA39D56
	v_mfma_i32_16x16x32_i8 v[232:235], a[88:89], v[208:209], v[232:235]// 0000000053F0: D3D700E8 0FA3A158
	ds_read_b64 v[184:185], v2 offset:2304                     // 0000000053F8: D8EC0900 B8000002
	ds_read_b64 v[188:189], v2 offset:10624                    // 000000005400: D8EC2980 BC000002
	v_mfma_i32_16x16x32_i8 v[232:235], a[90:91], v[210:211], v[232:235]// 000000005408: D3D700E8 0FA3A55A
	buffer_load_dwordx4 a[4:7], v36, s[24:27], 0 offen offset:1024// 000000005410: E05C1400 80860424
	v_mfma_i32_16x16x32_i8 v[232:235], a[92:93], v[212:213], v[232:235]// 000000005418: D3D700E8 0FA3A95C
	ds_read_b64 v[192:193], v2 offset:2432                     // 000000005420: D8EC0980 C0000002
	ds_read_b64 v[196:197], v2 offset:10752                    // 000000005428: D8EC2A00 C4000002
	v_mfma_i32_16x16x32_i8 v[232:235], a[94:95], v[214:215], v[232:235]// 000000005430: D3D700E8 0FA3AD5E
	s_waitcnt lgkmcnt(4)                                       // 000000005438: BF8CC47F
	v_and_b32_e32 v171, 0xffff0000, v169                       // 00000000543C: 275752FF FFFF0000
	v_lshlrev_b32_e32 v170, 16, v169                           // 000000005444: 25555290
	v_and_b32_e32 v169, 0xffff0000, v168                       // 000000005448: 275350FF FFFF0000
	v_lshlrev_b32_e32 v168, 16, v168                           // 000000005450: 25515090
	v_and_b32_e32 v175, 0xffff0000, v173                       // 000000005454: 275F5AFF FFFF0000
	v_lshlrev_b32_e32 v174, 16, v173                           // 00000000545C: 255D5A90
	v_and_b32_e32 v173, 0xffff0000, v172                       // 000000005460: 275B58FF FFFF0000
	v_lshlrev_b32_e32 v172, 16, v172                           // 000000005468: 25595890
	v_and_b32_e32 v179, 0xffff0000, v177                       // 00000000546C: 276762FF FFFF0000
	v_lshlrev_b32_e32 v178, 16, v177                           // 000000005474: 25656290
	v_and_b32_e32 v177, 0xffff0000, v176                       // 000000005478: 276360FF FFFF0000
	v_lshlrev_b32_e32 v176, 16, v176                           // 000000005480: 25616090
	v_and_b32_e32 v183, 0xffff0000, v181                       // 000000005484: 276F6AFF FFFF0000
	v_lshlrev_b32_e32 v182, 16, v181                           // 00000000548C: 256D6A90
	v_and_b32_e32 v181, 0xffff0000, v180                       // 000000005490: 276B68FF FFFF0000
	v_lshlrev_b32_e32 v180, 16, v180                           // 000000005498: 25696890
	v_mul_f32_dpp v168, v14, v168 row_newbcast:0 row_mask:0xf bank_mask:0xf// 00000000549C: 0B5150FA FF01500E
	v_mul_f32_dpp v169, v14, v169 row_newbcast:1 row_mask:0xf bank_mask:0xf// 0000000054A4: 0B5352FA FF01510E
	v_mul_f32_dpp v170, v14, v170 row_newbcast:2 row_mask:0xf bank_mask:0xf// 0000000054AC: 0B5554FA FF01520E
	v_mul_f32_dpp v171, v14, v171 row_newbcast:3 row_mask:0xf bank_mask:0xf// 0000000054B4: 0B5756FA FF01530E
	v_mul_f32_dpp v172, v14, v172 row_newbcast:0 row_mask:0xf bank_mask:0xf// 0000000054BC: 0B5958FA FF01500E
	v_mul_f32_dpp v173, v14, v173 row_newbcast:1 row_mask:0xf bank_mask:0xf// 0000000054C4: 0B5B5AFA FF01510E
	v_mul_f32_dpp v174, v14, v174 row_newbcast:2 row_mask:0xf bank_mask:0xf// 0000000054CC: 0B5D5CFA FF01520E
	v_mul_f32_dpp v175, v14, v175 row_newbcast:3 row_mask:0xf bank_mask:0xf// 0000000054D4: 0B5F5EFA FF01530E
	v_mul_f32_dpp v176, v14, v176 row_newbcast:4 row_mask:0xf bank_mask:0xf// 0000000054DC: 0B6160FA FF01540E
	v_mul_f32_dpp v177, v14, v177 row_newbcast:5 row_mask:0xf bank_mask:0xf// 0000000054E4: 0B6362FA FF01550E
	v_mul_f32_dpp v178, v14, v178 row_newbcast:6 row_mask:0xf bank_mask:0xf// 0000000054EC: 0B6564FA FF01560E
	v_mul_f32_dpp v179, v14, v179 row_newbcast:7 row_mask:0xf bank_mask:0xf// 0000000054F4: 0B6766FA FF01570E
	v_mul_f32_dpp v180, v14, v180 row_newbcast:4 row_mask:0xf bank_mask:0xf// 0000000054FC: 0B6968FA FF01540E
	v_mul_f32_dpp v181, v14, v181 row_newbcast:5 row_mask:0xf bank_mask:0xf// 000000005504: 0B6B6AFA FF01550E
	v_mul_f32_dpp v182, v14, v182 row_newbcast:6 row_mask:0xf bank_mask:0xf// 00000000550C: 0B6D6CFA FF01560E
	v_mul_f32_dpp v183, v14, v183 row_newbcast:7 row_mask:0xf bank_mask:0xf// 000000005514: 0B6F6EFA FF01570E
	v_mfma_i32_16x16x32_i8 v[236:239], a[80:81], v[216:217], 0 // 00000000551C: D3D700EC 0A03B150
	v_mfma_i32_16x16x32_i8 v[236:239], a[82:83], v[218:219], v[236:239]// 000000005524: D3D700EC 0FB3B552
	buffer_load_dwordx4 a[8:11], v36, s[24:27], 0 offen offset:2048// 00000000552C: E05C1800 80860824
	v_mfma_i32_16x16x32_i8 v[236:239], a[84:85], v[220:221], v[236:239]// 000000005534: D3D700EC 0FB3B954
	v_mfma_i32_16x16x32_i8 v[236:239], a[86:87], v[222:223], v[236:239]// 00000000553C: D3D700EC 0FB3BD56
	v_mfma_i32_16x16x32_i8 v[236:239], a[88:89], v[224:225], v[236:239]// 000000005544: D3D700EC 0FB3C158
	v_mfma_i32_16x16x32_i8 v[236:239], a[90:91], v[226:227], v[236:239]// 00000000554C: D3D700EC 0FB3C55A
	buffer_load_dwordx4 a[12:15], v36, s[24:27], 0 offen offset:3072// 000000005554: E05C1C00 80860C24
	v_mfma_i32_16x16x32_i8 v[236:239], a[92:93], v[228:229], v[236:239]// 00000000555C: D3D700EC 0FB3C95C
	v_mfma_i32_16x16x32_i8 v[236:239], a[94:95], v[230:231], v[236:239]// 000000005564: D3D700EC 0FB3CD5E
	s_waitcnt lgkmcnt(0)                                       // 00000000556C: BF8CC07F
	v_and_b32_e32 v187, 0xffff0000, v185                       // 000000005570: 277772FF FFFF0000
	v_lshlrev_b32_e32 v186, 16, v185                           // 000000005578: 25757290
	v_and_b32_e32 v185, 0xffff0000, v184                       // 00000000557C: 277370FF FFFF0000
	v_lshlrev_b32_e32 v184, 16, v184                           // 000000005584: 25717090
	v_and_b32_e32 v191, 0xffff0000, v189                       // 000000005588: 277F7AFF FFFF0000
	v_lshlrev_b32_e32 v190, 16, v189                           // 000000005590: 257D7A90
	v_and_b32_e32 v189, 0xffff0000, v188                       // 000000005594: 277B78FF FFFF0000
	v_lshlrev_b32_e32 v188, 16, v188                           // 00000000559C: 25797890
	v_and_b32_e32 v195, 0xffff0000, v193                       // 0000000055A0: 278782FF FFFF0000
	v_lshlrev_b32_e32 v194, 16, v193                           // 0000000055A8: 25858290
	v_and_b32_e32 v193, 0xffff0000, v192                       // 0000000055AC: 278380FF FFFF0000
	v_lshlrev_b32_e32 v192, 16, v192                           // 0000000055B4: 25818090
	v_and_b32_e32 v199, 0xffff0000, v197                       // 0000000055B8: 278F8AFF FFFF0000
	v_lshlrev_b32_e32 v198, 16, v197                           // 0000000055C0: 258D8A90
	v_and_b32_e32 v197, 0xffff0000, v196                       // 0000000055C4: 278B88FF FFFF0000
	v_lshlrev_b32_e32 v196, 16, v196                           // 0000000055CC: 25898890
	v_mul_f32_dpp v184, v14, v184 row_newbcast:8 row_mask:0xf bank_mask:0xf// 0000000055D0: 0B7170FA FF01580E
	v_mul_f32_dpp v185, v14, v185 row_newbcast:9 row_mask:0xf bank_mask:0xf// 0000000055D8: 0B7372FA FF01590E
	v_mul_f32_dpp v186, v14, v186 row_newbcast:10 row_mask:0xf bank_mask:0xf// 0000000055E0: 0B7574FA FF015A0E
	v_mul_f32_dpp v187, v14, v187 row_newbcast:11 row_mask:0xf bank_mask:0xf// 0000000055E8: 0B7776FA FF015B0E
	v_mul_f32_dpp v188, v14, v188 row_newbcast:8 row_mask:0xf bank_mask:0xf// 0000000055F0: 0B7978FA FF01580E
	v_mul_f32_dpp v189, v14, v189 row_newbcast:9 row_mask:0xf bank_mask:0xf// 0000000055F8: 0B7B7AFA FF01590E
	v_mul_f32_dpp v190, v14, v190 row_newbcast:10 row_mask:0xf bank_mask:0xf// 000000005600: 0B7D7CFA FF015A0E
	v_mul_f32_dpp v191, v14, v191 row_newbcast:11 row_mask:0xf bank_mask:0xf// 000000005608: 0B7F7EFA FF015B0E
	v_mul_f32_dpp v192, v14, v192 row_newbcast:12 row_mask:0xf bank_mask:0xf// 000000005610: 0B8180FA FF015C0E
	v_mul_f32_dpp v193, v14, v193 row_newbcast:13 row_mask:0xf bank_mask:0xf// 000000005618: 0B8382FA FF015D0E
	v_mul_f32_dpp v194, v14, v194 row_newbcast:14 row_mask:0xf bank_mask:0xf// 000000005620: 0B8584FA FF015E0E
	v_mul_f32_dpp v195, v14, v195 row_newbcast:15 row_mask:0xf bank_mask:0xf// 000000005628: 0B8786FA FF015F0E
	v_mul_f32_dpp v196, v14, v196 row_newbcast:12 row_mask:0xf bank_mask:0xf// 000000005630: 0B8988FA FF015C0E
	v_mul_f32_dpp v197, v14, v197 row_newbcast:13 row_mask:0xf bank_mask:0xf// 000000005638: 0B8B8AFA FF015D0E
	v_mul_f32_dpp v198, v14, v198 row_newbcast:14 row_mask:0xf bank_mask:0xf// 000000005640: 0B8D8CFA FF015E0E
	v_mul_f32_dpp v199, v14, v199 row_newbcast:15 row_mask:0xf bank_mask:0xf// 000000005648: 0B8F8EFA FF015F0E
	v_cvt_f32_i32_e32 v232, v232                               // 000000005650: 7FD00BE8
	v_cvt_f32_i32_e32 v233, v233                               // 000000005654: 7FD20BE9
	v_cvt_f32_i32_e32 v234, v234                               // 000000005658: 7FD40BEA
	v_cvt_f32_i32_e32 v235, v235                               // 00000000565C: 7FD60BEB
	v_pk_fma_f32 v[64:65], v[232:233], v[240:241], v[64:65]    // 000000005660: D3B04040 1D03E1E8
	v_pk_fma_f32 v[66:67], v[234:235], v[240:241], v[66:67]    // 000000005668: D3B04042 1D0BE1EA
	v_mfma_i32_16x16x32_i8 v[232:235], a[96:97], v[200:201], 0 // 000000005670: D3D700E8 0A039160
	v_mfma_i32_16x16x32_i8 v[232:235], a[98:99], v[202:203], v[232:235]// 000000005678: D3D700E8 0FA39562
	buffer_load_dwordx4 a[16:19], v37, s[24:27], 0 offen       // 000000005680: E05C1000 80861025
	v_mov_b32_e32 v46, 0x358637bd                              // 000000005688: 7E5C02FF 358637BD
	v_mov_b32_e32 v47, 0x358637bd                              // 000000005690: 7E5E02FF 358637BD
	v_max3_f32 v46, |v168|, |v169|, v46                        // 000000005698: D1D3032E 04BB53A8
	v_max3_f32 v46, |v170|, |v171|, v46                        // 0000000056A0: D1D3032E 04BB57AA
	v_max3_f32 v47, |v172|, |v173|, v47                        // 0000000056A8: D1D3032F 04BF5BAC
	v_max3_f32 v47, |v174|, |v175|, v47                        // 0000000056B0: D1D3032F 04BF5FAE
	v_max3_f32 v46, |v176|, |v177|, v46                        // 0000000056B8: D1D3032E 04BB63B0
	v_max3_f32 v46, |v178|, |v179|, v46                        // 0000000056C0: D1D3032E 04BB67B2
	v_max3_f32 v47, |v180|, |v181|, v47                        // 0000000056C8: D1D3032F 04BF6BB4
	v_max3_f32 v47, |v182|, |v183|, v47                        // 0000000056D0: D1D3032F 04BF6FB6
	v_max3_f32 v46, |v184|, |v185|, v46                        // 0000000056D8: D1D3032E 04BB73B8
	v_max3_f32 v46, |v186|, |v187|, v46                        // 0000000056E0: D1D3032E 04BB77BA
	v_max3_f32 v47, |v188|, |v189|, v47                        // 0000000056E8: D1D3032F 04BF7BBC
	v_max3_f32 v47, |v190|, |v191|, v47                        // 0000000056F0: D1D3032F 04BF7FBE
	v_max3_f32 v46, |v192|, |v193|, v46                        // 0000000056F8: D1D3032E 04BB83C0
	v_max3_f32 v46, |v194|, |v195|, v46                        // 000000005700: D1D3032E 04BB87C2
	v_max3_f32 v47, |v196|, |v197|, v47                        // 000000005708: D1D3032F 04BF8BC4
	v_max3_f32 v47, |v198|, |v199|, v47                        // 000000005710: D1D3032F 04BF8FC6
	v_mfma_i32_16x16x32_i8 v[232:235], a[100:101], v[204:205], v[232:235]// 000000005718: D3D700E8 0FA39964
	ds_write_b64 v3, v[46:47]                                  // 000000005720: D89A0000 00002E03
	v_mfma_i32_16x16x32_i8 v[232:235], a[102:103], v[206:207], v[232:235]// 000000005728: D3D700E8 0FA39D66
	v_mfma_i32_16x16x32_i8 v[232:235], a[104:105], v[208:209], v[232:235]// 000000005730: D3D700E8 0FA3A168
	v_mfma_i32_16x16x32_i8 v[232:235], a[106:107], v[210:211], v[232:235]// 000000005738: D3D700E8 0FA3A56A
	buffer_load_dwordx4 a[20:23], v37, s[24:27], 0 offen offset:1024// 000000005740: E05C1400 80861425
	s_waitcnt lgkmcnt(0)                                       // 000000005748: BF8CC07F
	s_barrier                                                  // 00000000574C: BF8A0000
	v_mfma_i32_16x16x32_i8 v[232:235], a[108:109], v[212:213], v[232:235]// 000000005750: D3D700E8 0FA3A96C
	ds_read_b64 v[46:47], v4                                   // 000000005758: D8EC0000 2E000004
	ds_read_b64 v[48:49], v4 offset:128                        // 000000005760: D8EC0080 30000004
	v_mfma_i32_16x16x32_i8 v[232:235], a[110:111], v[214:215], v[232:235]// 000000005768: D3D700E8 0FA3AD6E
	v_cvt_f32_i32_e32 v236, v236                               // 000000005770: 7FD80BEC
	v_cvt_f32_i32_e32 v237, v237                               // 000000005774: 7FDA0BED
	v_cvt_f32_i32_e32 v238, v238                               // 000000005778: 7FDC0BEE
	v_cvt_f32_i32_e32 v239, v239                               // 00000000577C: 7FDE0BEF
	v_pk_fma_f32 v[68:69], v[236:237], v[242:243], v[68:69]    // 000000005780: D3B04044 1D13E5EC
	v_pk_fma_f32 v[70:71], v[238:239], v[242:243], v[70:71]    // 000000005788: D3B04046 1D1BE5EE
	v_mfma_i32_16x16x32_i8 v[236:239], a[96:97], v[216:217], 0 // 000000005790: D3D700EC 0A03B160
	ds_read_b64 v[50:51], v4 offset:256                        // 000000005798: D8EC0100 32000004
	ds_read_b64 v[52:53], v4 offset:384                        // 0000000057A0: D8EC0180 34000004
	v_mfma_i32_16x16x32_i8 v[236:239], a[98:99], v[218:219], v[236:239]// 0000000057A8: D3D700EC 0FB3B562
	buffer_load_dwordx4 a[24:27], v37, s[24:27], 0 offen offset:2048// 0000000057B0: E05C1800 80861825
	v_mfma_i32_16x16x32_i8 v[236:239], a[100:101], v[220:221], v[236:239]// 0000000057B8: D3D700EC 0FB3B964
	ds_read_b64 v[54:55], v4 offset:512                        // 0000000057C0: D8EC0200 36000004
	ds_read_b64 v[56:57], v4 offset:640                        // 0000000057C8: D8EC0280 38000004
	v_mfma_i32_16x16x32_i8 v[236:239], a[102:103], v[222:223], v[236:239]// 0000000057D0: D3D700EC 0FB3BD66
	v_mfma_i32_16x16x32_i8 v[236:239], a[104:105], v[224:225], v[236:239]// 0000000057D8: D3D700EC 0FB3C168
	ds_read_b64 v[58:59], v4 offset:768                        // 0000000057E0: D8EC0300 3A000004
	ds_read_b64 v[60:61], v4 offset:896                        // 0000000057E8: D8EC0380 3C000004
	v_mfma_i32_16x16x32_i8 v[236:239], a[106:107], v[226:227], v[236:239]// 0000000057F0: D3D700EC 0FB3C56A
	buffer_load_dwordx4 a[28:31], v37, s[24:27], 0 offen offset:3072// 0000000057F8: E05C1C00 80861C25
	v_mfma_i32_16x16x32_i8 v[236:239], a[108:109], v[228:229], v[236:239]// 000000005800: D3D700EC 0FB3C96C
	v_mfma_i32_16x16x32_i8 v[236:239], a[110:111], v[230:231], v[236:239]// 000000005808: D3D700EC 0FB3CD6E
	v_cvt_f32_i32_e32 v232, v232                               // 000000005810: 7FD00BE8
	v_cvt_f32_i32_e32 v233, v233                               // 000000005814: 7FD20BE9
	v_cvt_f32_i32_e32 v234, v234                               // 000000005818: 7FD40BEA
	v_cvt_f32_i32_e32 v235, v235                               // 00000000581C: 7FD60BEB
	v_pk_fma_f32 v[72:73], v[232:233], v[240:241], v[72:73]    // 000000005820: D3B04048 1D23E1E8
	v_pk_fma_f32 v[74:75], v[234:235], v[240:241], v[74:75]    // 000000005828: D3B0404A 1D2BE1EA
	s_waitcnt vmcnt(16)                                        // 000000005830: BF8C4F70
	v_mfma_i32_16x16x32_i8 v[232:235], a[112:113], v[200:201], 0// 000000005834: D3D700E8 0A039170
	v_mfma_i32_16x16x32_i8 v[232:235], a[114:115], v[202:203], v[232:235]// 00000000583C: D3D700E8 0FA39572
	buffer_load_dwordx4 a[32:35], v38, s[24:27], 0 offen       // 000000005844: E05C1000 80862026
	s_waitcnt lgkmcnt(0)                                       // 00000000584C: BF8CC07F
	v_mov_b32_e32 v22, 0x358637bd                              // 000000005850: 7E2C02FF 358637BD
	v_mov_b32_e32 v23, 0x358637bd                              // 000000005858: 7E2E02FF 358637BD
	v_max3_f32 v22, |v46|, |v48|, v22                          // 000000005860: D1D30316 045A612E
	v_max3_f32 v23, |v47|, |v49|, v23                          // 000000005868: D1D30317 045E632F
	v_max3_f32 v22, |v50|, |v52|, v22                          // 000000005870: D1D30316 045A6932
	v_max3_f32 v23, |v51|, |v53|, v23                          // 000000005878: D1D30317 045E6B33
	v_max3_f32 v22, |v54|, |v56|, v22                          // 000000005880: D1D30316 045A7136
	v_max3_f32 v23, |v55|, |v57|, v23                          // 000000005888: D1D30317 045E7337
	v_max3_f32 v22, |v58|, |v60|, v22                          // 000000005890: D1D30316 045A793A
	v_max3_f32 v23, |v59|, |v61|, v23                          // 000000005898: D1D30317 045E7B3B
	v_mfma_i32_16x16x32_i8 v[232:235], a[116:117], v[204:205], v[232:235]// 0000000058A0: D3D700E8 0FA39974
	ds_read_b64 v[46:47], v4 offset:1024                       // 0000000058A8: D8EC0400 2E000004
	ds_read_b64 v[48:49], v4 offset:1152                       // 0000000058B0: D8EC0480 30000004
	v_mfma_i32_16x16x32_i8 v[232:235], a[118:119], v[206:207], v[232:235]// 0000000058B8: D3D700E8 0FA39D76
	v_mfma_i32_16x16x32_i8 v[232:235], a[120:121], v[208:209], v[232:235]// 0000000058C0: D3D700E8 0FA3A178
	ds_read_b64 v[50:51], v4 offset:1280                       // 0000000058C8: D8EC0500 32000004
	ds_read_b64 v[52:53], v4 offset:1408                       // 0000000058D0: D8EC0580 34000004
	v_mfma_i32_16x16x32_i8 v[232:235], a[122:123], v[210:211], v[232:235]// 0000000058D8: D3D700E8 0FA3A57A
	buffer_load_dwordx4 a[36:39], v38, s[24:27], 0 offen offset:1024// 0000000058E0: E05C1400 80862426
	v_mfma_i32_16x16x32_i8 v[232:235], a[124:125], v[212:213], v[232:235]// 0000000058E8: D3D700E8 0FA3A97C
	ds_read_b64 v[54:55], v4 offset:1536                       // 0000000058F0: D8EC0600 36000004
	ds_read_b64 v[56:57], v4 offset:1664                       // 0000000058F8: D8EC0680 38000004
	v_mfma_i32_16x16x32_i8 v[232:235], a[126:127], v[214:215], v[232:235]// 000000005900: D3D700E8 0FA3AD7E
	v_cvt_f32_i32_e32 v236, v236                               // 000000005908: 7FD80BEC
	v_cvt_f32_i32_e32 v237, v237                               // 00000000590C: 7FDA0BED
	v_cvt_f32_i32_e32 v238, v238                               // 000000005910: 7FDC0BEE
	v_cvt_f32_i32_e32 v239, v239                               // 000000005914: 7FDE0BEF
	v_pk_fma_f32 v[76:77], v[236:237], v[242:243], v[76:77]    // 000000005918: D3B0404C 1D33E5EC
	v_pk_fma_f32 v[78:79], v[238:239], v[242:243], v[78:79]    // 000000005920: D3B0404E 1D3BE5EE
	v_mfma_i32_16x16x32_i8 v[236:239], a[112:113], v[216:217], 0// 000000005928: D3D700EC 0A03B170
	ds_read_b64 v[58:59], v4 offset:1792                       // 000000005930: D8EC0700 3A000004
	ds_read_b64 v[60:61], v4 offset:1920                       // 000000005938: D8EC0780 3C000004
	v_mfma_i32_16x16x32_i8 v[236:239], a[114:115], v[218:219], v[236:239]// 000000005940: D3D700EC 0FB3B572
	buffer_load_dwordx4 a[40:43], v38, s[24:27], 0 offen offset:2048// 000000005948: E05C1800 80862826
	v_mfma_i32_16x16x32_i8 v[236:239], a[116:117], v[220:221], v[236:239]// 000000005950: D3D700EC 0FB3B974
	v_mfma_i32_16x16x32_i8 v[236:239], a[118:119], v[222:223], v[236:239]// 000000005958: D3D700EC 0FB3BD76
	v_mfma_i32_16x16x32_i8 v[236:239], a[120:121], v[224:225], v[236:239]// 000000005960: D3D700EC 0FB3C178
	v_mfma_i32_16x16x32_i8 v[236:239], a[122:123], v[226:227], v[236:239]// 000000005968: D3D700EC 0FB3C57A
	buffer_load_dwordx4 a[44:47], v38, s[24:27], 0 offen offset:3072// 000000005970: E05C1C00 80862C26
	s_waitcnt lgkmcnt(0)                                       // 000000005978: BF8CC07F
	v_max3_f32 v22, |v46|, |v48|, v22                          // 00000000597C: D1D30316 045A612E
	v_max3_f32 v23, |v47|, |v49|, v23                          // 000000005984: D1D30317 045E632F
	v_max3_f32 v22, |v50|, |v52|, v22                          // 00000000598C: D1D30316 045A6932
	v_max3_f32 v23, |v51|, |v53|, v23                          // 000000005994: D1D30317 045E6B33
	v_max3_f32 v22, |v54|, |v56|, v22                          // 00000000599C: D1D30316 045A7136
	v_max3_f32 v23, |v55|, |v57|, v23                          // 0000000059A4: D1D30317 045E7337
	v_max3_f32 v22, |v58|, |v60|, v22                          // 0000000059AC: D1D30316 045A793A
	v_max3_f32 v23, |v59|, |v61|, v23                          // 0000000059B4: D1D30317 045E7B3B
	v_mov_b32_e32 v42, 0x42fe0000                              // 0000000059BC: 7E5402FF 42FE0000
	v_rcp_f32_e32 v22, v22                                     // 0000000059C4: 7E2C4516
	v_rcp_f32_e32 v23, v23                                     // 0000000059C8: 7E2E4517
	s_nop 1                                                    // 0000000059CC: BF800001
	v_mul_f32_e32 v22, v42, v22                                // 0000000059D0: 0A2C2D2A
	v_mul_f32_e32 v23, v42, v23                                // 0000000059D4: 0A2E2F2A
	v_rcp_f32_e32 v24, v22                                     // 0000000059D8: 7E304516
	v_rcp_f32_e32 v25, v23                                     // 0000000059DC: 7E324517
	v_mov_b32_e32 v42, v22                                     // 0000000059E0: 7E540316
	v_mov_b32_e32 v43, v22                                     // 0000000059E4: 7E560316
	v_mov_b32_e32 v44, v23                                     // 0000000059E8: 7E580317
	v_mov_b32_e32 v45, v23                                     // 0000000059EC: 7E5A0317
	v_pk_mul_f32 v[168:169], v[42:43], v[168:169]              // 0000000059F0: D3B140A8 1803512A
	v_pk_mul_f32 v[170:171], v[42:43], v[170:171]              // 0000000059F8: D3B140AA 1803552A
	v_cvt_i32_f32_e32 v168, v168                               // 000000005A00: 7F5011A8
	v_cvt_i32_f32_e32 v169, v169                               // 000000005A04: 7F5211A9
	v_cvt_i32_f32_e32 v170, v170                               // 000000005A08: 7F5411AA
	v_cvt_i32_f32_e32 v171, v171                               // 000000005A0C: 7F5611AB
	v_perm_b32 v168, v169, v168, s53                           // 000000005A10: D1ED00A8 00D751A9
	v_perm_b32 v168, v170, v168, s54                           // 000000005A18: D1ED00A8 00DB51AA
	v_perm_b32 v168, v171, v168, s55                           // 000000005A20: D1ED00A8 00DF51AB
	v_pk_mul_f32 v[172:173], v[44:45], v[172:173]              // 000000005A28: D3B140AC 1803592C
	v_pk_mul_f32 v[174:175], v[44:45], v[174:175]              // 000000005A30: D3B140AE 18035D2C
	v_cvt_i32_f32_e32 v172, v172                               // 000000005A38: 7F5811AC
	v_cvt_i32_f32_e32 v173, v173                               // 000000005A3C: 7F5A11AD
	v_cvt_i32_f32_e32 v174, v174                               // 000000005A40: 7F5C11AE
	v_cvt_i32_f32_e32 v175, v175                               // 000000005A44: 7F5E11AF
	v_perm_b32 v169, v173, v172, s53                           // 000000005A48: D1ED00A9 00D759AD
	v_perm_b32 v169, v174, v169, s54                           // 000000005A50: D1ED00A9 00DB53AE
	v_perm_b32 v169, v175, v169, s55                           // 000000005A58: D1ED00A9 00DF53AF
	v_pk_mul_f32 v[176:177], v[42:43], v[176:177]              // 000000005A60: D3B140B0 1803612A
	v_pk_mul_f32 v[178:179], v[42:43], v[178:179]              // 000000005A68: D3B140B2 1803652A
	v_cvt_i32_f32_e32 v176, v176                               // 000000005A70: 7F6011B0
	v_cvt_i32_f32_e32 v177, v177                               // 000000005A74: 7F6211B1
	v_cvt_i32_f32_e32 v178, v178                               // 000000005A78: 7F6411B2
	v_cvt_i32_f32_e32 v179, v179                               // 000000005A7C: 7F6611B3
	v_perm_b32 v170, v177, v176, s53                           // 000000005A80: D1ED00AA 00D761B1
	v_perm_b32 v170, v178, v170, s54                           // 000000005A88: D1ED00AA 00DB55B2
	v_perm_b32 v170, v179, v170, s55                           // 000000005A90: D1ED00AA 00DF55B3
	v_pk_mul_f32 v[180:181], v[44:45], v[180:181]              // 000000005A98: D3B140B4 1803692C
	v_pk_mul_f32 v[182:183], v[44:45], v[182:183]              // 000000005AA0: D3B140B6 18036D2C
	v_cvt_i32_f32_e32 v180, v180                               // 000000005AA8: 7F6811B4
	v_cvt_i32_f32_e32 v181, v181                               // 000000005AAC: 7F6A11B5
	v_cvt_i32_f32_e32 v182, v182                               // 000000005AB0: 7F6C11B6
	v_cvt_i32_f32_e32 v183, v183                               // 000000005AB4: 7F6E11B7
	v_perm_b32 v171, v181, v180, s53                           // 000000005AB8: D1ED00AB 00D769B5
	v_perm_b32 v171, v182, v171, s54                           // 000000005AC0: D1ED00AB 00DB57B6
	v_perm_b32 v171, v183, v171, s55                           // 000000005AC8: D1ED00AB 00DF57B7
	v_pk_mul_f32 v[184:185], v[42:43], v[184:185]              // 000000005AD0: D3B140B8 1803712A
	v_pk_mul_f32 v[186:187], v[42:43], v[186:187]              // 000000005AD8: D3B140BA 1803752A
	v_cvt_i32_f32_e32 v184, v184                               // 000000005AE0: 7F7011B8
	v_cvt_i32_f32_e32 v185, v185                               // 000000005AE4: 7F7211B9
	v_cvt_i32_f32_e32 v186, v186                               // 000000005AE8: 7F7411BA
	v_cvt_i32_f32_e32 v187, v187                               // 000000005AEC: 7F7611BB
	v_perm_b32 v172, v185, v184, s53                           // 000000005AF0: D1ED00AC 00D771B9
	v_perm_b32 v172, v186, v172, s54                           // 000000005AF8: D1ED00AC 00DB59BA
	v_perm_b32 v172, v187, v172, s55                           // 000000005B00: D1ED00AC 00DF59BB
	v_pk_mul_f32 v[188:189], v[44:45], v[188:189]              // 000000005B08: D3B140BC 1803792C
	v_pk_mul_f32 v[190:191], v[44:45], v[190:191]              // 000000005B10: D3B140BE 18037D2C
	v_cvt_i32_f32_e32 v188, v188                               // 000000005B18: 7F7811BC
	v_cvt_i32_f32_e32 v189, v189                               // 000000005B1C: 7F7A11BD
	v_cvt_i32_f32_e32 v190, v190                               // 000000005B20: 7F7C11BE
	v_cvt_i32_f32_e32 v191, v191                               // 000000005B24: 7F7E11BF
	v_perm_b32 v173, v189, v188, s53                           // 000000005B28: D1ED00AD 00D779BD
	v_perm_b32 v173, v190, v173, s54                           // 000000005B30: D1ED00AD 00DB5BBE
	v_perm_b32 v173, v191, v173, s55                           // 000000005B38: D1ED00AD 00DF5BBF
	v_pk_mul_f32 v[192:193], v[42:43], v[192:193]              // 000000005B40: D3B140C0 1803812A
	v_pk_mul_f32 v[194:195], v[42:43], v[194:195]              // 000000005B48: D3B140C2 1803852A
	v_cvt_i32_f32_e32 v192, v192                               // 000000005B50: 7F8011C0
	v_cvt_i32_f32_e32 v193, v193                               // 000000005B54: 7F8211C1
	v_cvt_i32_f32_e32 v194, v194                               // 000000005B58: 7F8411C2
	v_cvt_i32_f32_e32 v195, v195                               // 000000005B5C: 7F8611C3
	v_perm_b32 v174, v193, v192, s53                           // 000000005B60: D1ED00AE 00D781C1
	v_perm_b32 v174, v194, v174, s54                           // 000000005B68: D1ED00AE 00DB5DC2
	v_perm_b32 v174, v195, v174, s55                           // 000000005B70: D1ED00AE 00DF5DC3
	v_pk_mul_f32 v[196:197], v[44:45], v[196:197]              // 000000005B78: D3B140C4 1803892C
	v_pk_mul_f32 v[198:199], v[44:45], v[198:199]              // 000000005B80: D3B140C6 18038D2C
	v_cvt_i32_f32_e32 v196, v196                               // 000000005B88: 7F8811C4
	v_cvt_i32_f32_e32 v197, v197                               // 000000005B8C: 7F8A11C5
	v_cvt_i32_f32_e32 v198, v198                               // 000000005B90: 7F8C11C6
	v_cvt_i32_f32_e32 v199, v199                               // 000000005B94: 7F8E11C7
	v_perm_b32 v175, v197, v196, s53                           // 000000005B98: D1ED00AF 00D789C5
	v_perm_b32 v175, v198, v175, s54                           // 000000005BA0: D1ED00AF 00DB5FC6
	v_perm_b32 v175, v199, v175, s55                           // 000000005BA8: D1ED00AF 00DF5FC7
	v_mfma_i32_16x16x32_i8 v[236:239], a[124:125], v[228:229], v[236:239]// 000000005BB0: D3D700EC 0FB3C97C
	ds_write_b32 v12, v168 offset:2048                         // 000000005BB8: D81A0800 0000A80C
	ds_write_b32 v12, v169 offset:6144                         // 000000005BC0: D81A1800 0000A90C
	v_mfma_i32_16x16x32_i8 v[236:239], a[126:127], v[230:231], v[236:239]// 000000005BC8: D3D700EC 0FB3CD7E
	v_cvt_f32_i32_e32 v232, v232                               // 000000005BD0: 7FD00BE8
	v_cvt_f32_i32_e32 v233, v233                               // 000000005BD4: 7FD20BE9
	v_cvt_f32_i32_e32 v234, v234                               // 000000005BD8: 7FD40BEA
	v_cvt_f32_i32_e32 v235, v235                               // 000000005BDC: 7FD60BEB
	v_pk_fma_f32 v[80:81], v[232:233], v[240:241], v[80:81]    // 000000005BE0: D3B04050 1D43E1E8
	v_pk_fma_f32 v[82:83], v[234:235], v[240:241], v[82:83]    // 000000005BE8: D3B04052 1D4BE1EA
	s_waitcnt vmcnt(16)                                        // 000000005BF0: BF8C4F70
	v_mfma_i32_16x16x32_i8 v[232:235], a[128:129], v[200:201], 0// 000000005BF4: D3D700E8 0A039180
	ds_write_b32 v12, v170 offset:3072                         // 000000005BFC: D81A0C00 0000AA0C
	ds_write_b32 v12, v171 offset:7168                         // 000000005C04: D81A1C00 0000AB0C
	v_mfma_i32_16x16x32_i8 v[232:235], a[130:131], v[202:203], v[232:235]// 000000005C0C: D3D700E8 0FA39582
	buffer_load_dwordx4 a[48:51], v39, s[24:27], 0 offen       // 000000005C14: E05C1000 80863027
	v_mfma_i32_16x16x32_i8 v[232:235], a[132:133], v[204:205], v[232:235]// 000000005C1C: D3D700E8 0FA39984
	ds_write_b32 v12, v172 offset:4096                         // 000000005C24: D81A1000 0000AC0C
	ds_write_b32 v12, v173 offset:8192                         // 000000005C2C: D81A2000 0000AD0C
	v_mfma_i32_16x16x32_i8 v[232:235], a[134:135], v[206:207], v[232:235]// 000000005C34: D3D700E8 0FA39D86
	v_mfma_i32_16x16x32_i8 v[232:235], a[136:137], v[208:209], v[232:235]// 000000005C3C: D3D700E8 0FA3A188
	ds_write_b32 v12, v174 offset:5120                         // 000000005C44: D81A1400 0000AE0C
	ds_write_b32 v12, v175 offset:9216                         // 000000005C4C: D81A2400 0000AF0C
	v_mfma_i32_16x16x32_i8 v[232:235], a[138:139], v[210:211], v[232:235]// 000000005C54: D3D700E8 0FA3A58A
	buffer_load_dwordx4 a[52:55], v39, s[24:27], 0 offen offset:1024// 000000005C5C: E05C1400 80863427
	v_mfma_i32_16x16x32_i8 v[232:235], a[140:141], v[212:213], v[232:235]// 000000005C64: D3D700E8 0FA3A98C
	v_mfma_i32_16x16x32_i8 v[232:235], a[142:143], v[214:215], v[232:235]// 000000005C6C: D3D700E8 0FA3AD8E
	v_cvt_f32_i32_e32 v236, v236                               // 000000005C74: 7FD80BEC
	v_cvt_f32_i32_e32 v237, v237                               // 000000005C78: 7FDA0BED
	v_cvt_f32_i32_e32 v238, v238                               // 000000005C7C: 7FDC0BEE
	v_cvt_f32_i32_e32 v239, v239                               // 000000005C80: 7FDE0BEF
	v_pk_fma_f32 v[84:85], v[236:237], v[242:243], v[84:85]    // 000000005C84: D3B04054 1D53E5EC
	v_pk_fma_f32 v[86:87], v[238:239], v[242:243], v[86:87]    // 000000005C8C: D3B04056 1D5BE5EE
	v_mfma_i32_16x16x32_i8 v[236:239], a[128:129], v[216:217], 0// 000000005C94: D3D700EC 0A03B180
	v_mfma_i32_16x16x32_i8 v[236:239], a[130:131], v[218:219], v[236:239]// 000000005C9C: D3D700EC 0FB3B582
	buffer_load_dwordx4 a[56:59], v39, s[24:27], 0 offen offset:2048// 000000005CA4: E05C1800 80863827
	v_mfma_i32_16x16x32_i8 v[236:239], a[132:133], v[220:221], v[236:239]// 000000005CAC: D3D700EC 0FB3B984
	v_mfma_i32_16x16x32_i8 v[236:239], a[134:135], v[222:223], v[236:239]// 000000005CB4: D3D700EC 0FB3BD86
	s_waitcnt lgkmcnt(0)                                       // 000000005CBC: BF8CC07F
	s_barrier                                                  // 000000005CC0: BF8A0000
	v_mfma_i32_16x16x32_i8 v[236:239], a[136:137], v[224:225], v[236:239]// 000000005CC4: D3D700EC 0FB3C188
	ds_read_b64 v[168:169], v13 offset:2048                    // 000000005CCC: D8EC0800 A800000D
	ds_read_b64 v[170:171], v13 offset:2176                    // 000000005CD4: D8EC0880 AA00000D
	v_mfma_i32_16x16x32_i8 v[236:239], a[138:139], v[226:227], v[236:239]// 000000005CDC: D3D700EC 0FB3C58A
	buffer_load_dwordx4 a[60:63], v39, s[24:27], 0 offen offset:3072// 000000005CE4: E05C1C00 80863C27
	v_mfma_i32_16x16x32_i8 v[236:239], a[140:141], v[228:229], v[236:239]// 000000005CEC: D3D700EC 0FB3C98C
	ds_read_b64 v[172:173], v13 offset:3072                    // 000000005CF4: D8EC0C00 AC00000D
	ds_read_b64 v[174:175], v13 offset:3200                    // 000000005CFC: D8EC0C80 AE00000D
	v_mfma_i32_16x16x32_i8 v[236:239], a[142:143], v[230:231], v[236:239]// 000000005D04: D3D700EC 0FB3CD8E
	v_cvt_f32_i32_e32 v232, v232                               // 000000005D0C: 7FD00BE8
	v_cvt_f32_i32_e32 v233, v233                               // 000000005D10: 7FD20BE9
	v_cvt_f32_i32_e32 v234, v234                               // 000000005D14: 7FD40BEA
	v_cvt_f32_i32_e32 v235, v235                               // 000000005D18: 7FD60BEB
	v_pk_fma_f32 v[88:89], v[232:233], v[240:241], v[88:89]    // 000000005D1C: D3B04058 1D63E1E8
	v_pk_fma_f32 v[90:91], v[234:235], v[240:241], v[90:91]    // 000000005D24: D3B0405A 1D6BE1EA
	s_waitcnt vmcnt(16)                                        // 000000005D2C: BF8C4F70
	v_mfma_i32_16x16x32_i8 v[232:235], a[144:145], v[200:201], 0// 000000005D30: D3D700E8 0A039190
	ds_read_b64 v[176:177], v13 offset:4096                    // 000000005D38: D8EC1000 B000000D
	ds_read_b64 v[178:179], v13 offset:4224                    // 000000005D40: D8EC1080 B200000D
	v_mfma_i32_16x16x32_i8 v[232:235], a[146:147], v[202:203], v[232:235]// 000000005D48: D3D700E8 0FA39592
	buffer_load_dwordx4 a[64:67], v40, s[24:27], 0 offen       // 000000005D50: E05C1000 80864028
	v_mfma_i32_16x16x32_i8 v[232:235], a[148:149], v[204:205], v[232:235]// 000000005D58: D3D700E8 0FA39994
	ds_read_b64 v[180:181], v13 offset:5120                    // 000000005D60: D8EC1400 B400000D
	ds_read_b64 v[182:183], v13 offset:5248                    // 000000005D68: D8EC1480 B600000D
	v_mfma_i32_16x16x32_i8 v[232:235], a[150:151], v[206:207], v[232:235]// 000000005D70: D3D700E8 0FA39D96
	v_mfma_i32_16x16x32_i8 v[232:235], a[152:153], v[208:209], v[232:235]// 000000005D78: D3D700E8 0FA3A198
	ds_read_b64 v[184:185], v13 offset:6144                    // 000000005D80: D8EC1800 B800000D
	ds_read_b64 v[186:187], v13 offset:6272                    // 000000005D88: D8EC1880 BA00000D
	v_mfma_i32_16x16x32_i8 v[232:235], a[154:155], v[210:211], v[232:235]// 000000005D90: D3D700E8 0FA3A59A
	buffer_load_dwordx4 a[68:71], v40, s[24:27], 0 offen offset:1024// 000000005D98: E05C1400 80864428
	v_mfma_i32_16x16x32_i8 v[232:235], a[156:157], v[212:213], v[232:235]// 000000005DA0: D3D700E8 0FA3A99C
	ds_read_b64 v[188:189], v13 offset:7168                    // 000000005DA8: D8EC1C00 BC00000D
	ds_read_b64 v[190:191], v13 offset:7296                    // 000000005DB0: D8EC1C80 BE00000D
	v_mfma_i32_16x16x32_i8 v[232:235], a[158:159], v[214:215], v[232:235]// 000000005DB8: D3D700E8 0FA3AD9E
	v_cvt_f32_i32_e32 v236, v236                               // 000000005DC0: 7FD80BEC
	v_cvt_f32_i32_e32 v237, v237                               // 000000005DC4: 7FDA0BED
	v_cvt_f32_i32_e32 v238, v238                               // 000000005DC8: 7FDC0BEE
	v_cvt_f32_i32_e32 v239, v239                               // 000000005DCC: 7FDE0BEF
	v_pk_fma_f32 v[92:93], v[236:237], v[242:243], v[92:93]    // 000000005DD0: D3B0405C 1D73E5EC
	v_pk_fma_f32 v[94:95], v[238:239], v[242:243], v[94:95]    // 000000005DD8: D3B0405E 1D7BE5EE
	v_mfma_i32_16x16x32_i8 v[236:239], a[144:145], v[216:217], 0// 000000005DE0: D3D700EC 0A03B190
	ds_read_b64 v[192:193], v13 offset:8192                    // 000000005DE8: D8EC2000 C000000D
	ds_read_b64 v[194:195], v13 offset:8320                    // 000000005DF0: D8EC2080 C200000D
	v_mfma_i32_16x16x32_i8 v[236:239], a[146:147], v[218:219], v[236:239]// 000000005DF8: D3D700EC 0FB3B592
	buffer_load_dwordx4 a[72:75], v40, s[24:27], 0 offen offset:2048// 000000005E00: E05C1800 80864828
	v_mfma_i32_16x16x32_i8 v[236:239], a[148:149], v[220:221], v[236:239]// 000000005E08: D3D700EC 0FB3B994
	ds_read_b64 v[196:197], v13 offset:9216                    // 000000005E10: D8EC2400 C400000D
	ds_read_b64 v[198:199], v13 offset:9344                    // 000000005E18: D8EC2480 C600000D
	v_mfma_i32_16x16x32_i8 v[236:239], a[150:151], v[222:223], v[236:239]// 000000005E20: D3D700EC 0FB3BD96
	v_mfma_i32_16x16x32_i8 v[236:239], a[152:153], v[224:225], v[236:239]// 000000005E28: D3D700EC 0FB3C198
	v_mfma_i32_16x16x32_i8 v[236:239], a[154:155], v[226:227], v[236:239]// 000000005E30: D3D700EC 0FB3C59A
	buffer_load_dwordx4 a[76:79], v40, s[24:27], 0 offen offset:3072// 000000005E38: E05C1C00 80864C28
	v_mfma_i32_16x16x32_i8 v[236:239], a[156:157], v[228:229], v[236:239]// 000000005E40: D3D700EC 0FB3C99C
	v_mfma_i32_16x16x32_i8 v[236:239], a[158:159], v[230:231], v[236:239]// 000000005E48: D3D700EC 0FB3CD9E
	v_cvt_f32_i32_e32 v232, v232                               // 000000005E50: 7FD00BE8
	v_cvt_f32_i32_e32 v233, v233                               // 000000005E54: 7FD20BE9
	v_cvt_f32_i32_e32 v234, v234                               // 000000005E58: 7FD40BEA
	v_cvt_f32_i32_e32 v235, v235                               // 000000005E5C: 7FD60BEB
	v_pk_fma_f32 v[96:97], v[232:233], v[240:241], v[96:97]    // 000000005E60: D3B04060 1D83E1E8
	v_pk_fma_f32 v[98:99], v[234:235], v[240:241], v[98:99]    // 000000005E68: D3B04062 1D8BE1EA
	v_cvt_f32_i32_e32 v236, v236                               // 000000005E70: 7FD80BEC
	v_cvt_f32_i32_e32 v237, v237                               // 000000005E74: 7FDA0BED
	v_cvt_f32_i32_e32 v238, v238                               // 000000005E78: 7FDC0BEE
	v_cvt_f32_i32_e32 v239, v239                               // 000000005E7C: 7FDE0BEF
	v_pk_fma_f32 v[100:101], v[236:237], v[242:243], v[100:101]// 000000005E80: D3B04064 1D93E5EC
	v_pk_fma_f32 v[102:103], v[238:239], v[242:243], v[102:103]// 000000005E88: D3B04066 1D9BE5EE
	s_add_u32 s60, 0x200, s80                                  // 000000005E90: 803C50FF 00000200
	s_cmp_lt_u32 s60, s81                                      // 000000005E98: BF0A513C
	s_cselect_b32 s57, s57, 0                                  // 000000005E9C: 85398039
	s_cselect_b32 s91, s91, 0                                  // 000000005EA0: 855B805B
	s_add_u32 s60, 0x200, s80                                  // 000000005EA4: 803C50FF 00000200
	s_cmp_lt_u32 s60, s81                                      // 000000005EAC: BF0A513C
	s_cselect_b32 s58, s58, 0                                  // 000000005EB0: 853A803A
	s_add_u32 s20, s57, s20                                    // 000000005EB4: 80141439
	s_addc_u32 s21, 0, s21                                     // 000000005EB8: 82151580
	s_add_u32 s28, s91, s28                                    // 000000005EBC: 801C1C5B
	s_addc_u32 s29, 0, s29                                     // 000000005EC0: 821D1D80
	s_add_u32 s24, s58, s24                                    // 000000005EC4: 8018183A
	s_addc_u32 s25, 0, s25                                     // 000000005EC8: 82191980
	s_add_u32 s92, s90, s92                                    // 000000005ECC: 805C5C5A
	s_addc_u32 s93, 0, s93                                     // 000000005ED0: 825D5D80
	s_addk_i32 s80, 0x100                                      // 000000005ED4: B7500100
	s_cmp_lt_i32 s80, s81                                      // 000000005ED8: BF045150
	s_cbranch_scc0 label_0C39                                  // 000000005EDC: BF840001
	s_branch label_03F4                                        // 000000005EE0: BF82F7BB

0000000000005ee4 <label_0C39>:
	s_mov_b32 s36, -1                                          // 000000005EE4: BEA400C1
	s_mov_b32 s37, -1                                          // 000000005EE8: BEA500C1
	s_mov_b64 s[60:61], 0                                      // 000000005EEC: BEBC0180
	s_cmp_lt_u32 s82, s66                                      // 000000005EF0: BF0A4252
	s_cselect_b64 s[20:21], s[36:37], s[60:61]                 // 000000005EF4: 85943C24
	s_cmp_lt_u32 s83, s66                                      // 000000005EF8: BF0A4253
	s_cselect_b64 s[22:23], s[36:37], s[60:61]                 // 000000005EFC: 85963C24
	s_cmp_lt_u32 s84, s66                                      // 000000005F00: BF0A4254
	s_cselect_b64 s[24:25], s[36:37], s[60:61]                 // 000000005F04: 85983C24
	s_cmp_lt_u32 s85, s66                                      // 000000005F08: BF0A4255
	s_cselect_b64 s[26:27], s[36:37], s[60:61]                 // 000000005F0C: 859A3C24
	s_cmp_lt_u32 s86, s66                                      // 000000005F10: BF0A4256
	s_cselect_b64 s[28:29], s[36:37], s[60:61]                 // 000000005F14: 859C3C24
	s_cmp_lt_u32 s87, s66                                      // 000000005F18: BF0A4257
	s_cselect_b64 s[30:31], s[36:37], s[60:61]                 // 000000005F1C: 859E3C24
	s_cmp_lt_u32 s88, s66                                      // 000000005F20: BF0A4258
	s_cselect_b64 s[32:33], s[36:37], s[60:61]                 // 000000005F24: 85A03C24
	s_cmp_lt_u32 s89, s66                                      // 000000005F28: BF0A4259
	s_cselect_b64 s[34:35], s[36:37], s[60:61]                 // 000000005F2C: 85A23C24
	v_mov_b32_e32 v54, 0xbfcc4231                              // 000000005F30: 7E6C02FF BFCC4231
	v_mov_b32_e32 v55, 0xbfcc4231                              // 000000005F38: 7E6E02FF BFCC4231
	v_mov_b32_e32 v51, 0xffff0000                              // 000000005F40: 7E6602FF FFFF0000
	v_mov_b32_e32 v52, 0x7fff0000                              // 000000005F48: 7E6802FF 7FFF0000
	v_mov_b32_e32 v53, 0x7fff                                  // 000000005F50: 7E6A02FF 00007FFF
	s_mul_i32 s60, s5, 16                                      // 000000005F58: 923C9005
	s_mul_i32 s60, s60, s70                                    // 000000005F5C: 923C463C
	v_lshlrev_b32_e32 v46, 4, v0                               // 000000005F60: 245C0084
	v_add_u32_e32 v46, s60, v46                                // 000000005F64: 685C5C3C
	s_mul_i32 s60, 64, s70                                     // 000000005F68: 923C46C0
	v_add_u32_e32 v47, s60, v46                                // 000000005F6C: 685E5C3C
	v_add_u32_e32 v48, s60, v47                                // 000000005F70: 68605E3C
	v_add_u32_e32 v49, s60, v48                                // 000000005F74: 6862603C
	v_lshrrev_b32_e32 v42, 4, v0                               // 000000005F78: 20540084
	v_mul_i32_i24_e32 v3, 34, v42                              // 000000005F7C: 0C0654A2
	v_and_b32_e32 v42, 15, v0                                  // 000000005F80: 2654008F
	v_mul_i32_i24_e32 v43, 2, v42                              // 000000005F84: 0C565482
	v_add_u32_e32 v3, v43, v3                                  // 000000005F88: 6806072B
	s_mul_i32 s60, s5, 0x88                                    // 000000005F8C: 923CFF05 00000088
	v_add_u32_e32 v3, s60, v3                                  // 000000005F94: 6806063C
	v_lshlrev_b32_e32 v3, 2, v3                                // 000000005F98: 24060682
	v_lshrrev_b32_e32 v42, 1, v0                               // 000000005F9C: 20540081
	v_mul_i32_i24_e32 v4, 34, v42                              // 000000005FA0: 0C0854A2
	v_and_b32_e32 v43, 1, v0                                   // 000000005FA4: 26560081
	v_add_u32_e32 v4, v43, v4                                  // 000000005FA8: 6808092B
	s_mul_i32 s60, s5, 2                                       // 000000005FAC: 923C8205
	v_add_u32_e32 v4, s60, v4                                  // 000000005FB0: 6808083C
	v_lshlrev_b32_e32 v4, 2, v4                                // 000000005FB4: 24080882
	v_mul_f32_dpp v128, v16, v128 row_newbcast:0 row_mask:0xf bank_mask:0xf// 000000005FB8: 0B0100FA FF015010
	v_mul_f32_dpp v129, v16, v129 row_newbcast:1 row_mask:0xf bank_mask:0xf// 000000005FC0: 0B0302FA FF015110
	v_mul_f32_dpp v130, v16, v130 row_newbcast:2 row_mask:0xf bank_mask:0xf// 000000005FC8: 0B0504FA FF015210
	v_mul_f32_dpp v131, v16, v131 row_newbcast:3 row_mask:0xf bank_mask:0xf// 000000005FD0: 0B0706FA FF015310
	v_mul_f32_dpp v132, v16, v132 row_newbcast:0 row_mask:0xf bank_mask:0xf// 000000005FD8: 0B0908FA FF015010
	v_mul_f32_dpp v133, v16, v133 row_newbcast:1 row_mask:0xf bank_mask:0xf// 000000005FE0: 0B0B0AFA FF015110
	v_mul_f32_dpp v134, v16, v134 row_newbcast:2 row_mask:0xf bank_mask:0xf// 000000005FE8: 0B0D0CFA FF015210
	v_mul_f32_dpp v135, v16, v135 row_newbcast:3 row_mask:0xf bank_mask:0xf// 000000005FF0: 0B0F0EFA FF015310
	v_mul_f32_dpp v136, v16, v136 row_newbcast:4 row_mask:0xf bank_mask:0xf// 000000005FF8: 0B1110FA FF015410
	v_mul_f32_dpp v137, v16, v137 row_newbcast:5 row_mask:0xf bank_mask:0xf// 000000006000: 0B1312FA FF015510
	v_mul_f32_dpp v138, v16, v138 row_newbcast:6 row_mask:0xf bank_mask:0xf// 000000006008: 0B1514FA FF015610
	v_mul_f32_dpp v139, v16, v139 row_newbcast:7 row_mask:0xf bank_mask:0xf// 000000006010: 0B1716FA FF015710
	v_mul_f32_dpp v140, v16, v140 row_newbcast:4 row_mask:0xf bank_mask:0xf// 000000006018: 0B1918FA FF015410
	v_mul_f32_dpp v141, v16, v141 row_newbcast:5 row_mask:0xf bank_mask:0xf// 000000006020: 0B1B1AFA FF015510
	v_mul_f32_dpp v142, v16, v142 row_newbcast:6 row_mask:0xf bank_mask:0xf// 000000006028: 0B1D1CFA FF015610
	v_mul_f32_dpp v143, v16, v143 row_newbcast:7 row_mask:0xf bank_mask:0xf// 000000006030: 0B1F1EFA FF015710
	v_mul_f32_dpp v144, v16, v144 row_newbcast:8 row_mask:0xf bank_mask:0xf// 000000006038: 0B2120FA FF015810
	v_mul_f32_dpp v145, v16, v145 row_newbcast:9 row_mask:0xf bank_mask:0xf// 000000006040: 0B2322FA FF015910
	v_mul_f32_dpp v146, v16, v146 row_newbcast:10 row_mask:0xf bank_mask:0xf// 000000006048: 0B2524FA FF015A10
	v_mul_f32_dpp v147, v16, v147 row_newbcast:11 row_mask:0xf bank_mask:0xf// 000000006050: 0B2726FA FF015B10
	v_mul_f32_dpp v148, v16, v148 row_newbcast:8 row_mask:0xf bank_mask:0xf// 000000006058: 0B2928FA FF015810
	v_mul_f32_dpp v149, v16, v149 row_newbcast:9 row_mask:0xf bank_mask:0xf// 000000006060: 0B2B2AFA FF015910
	v_mul_f32_dpp v150, v16, v150 row_newbcast:10 row_mask:0xf bank_mask:0xf// 000000006068: 0B2D2CFA FF015A10
	v_mul_f32_dpp v151, v16, v151 row_newbcast:11 row_mask:0xf bank_mask:0xf// 000000006070: 0B2F2EFA FF015B10
	v_mul_f32_dpp v152, v16, v152 row_newbcast:12 row_mask:0xf bank_mask:0xf// 000000006078: 0B3130FA FF015C10
	v_mul_f32_dpp v153, v16, v153 row_newbcast:13 row_mask:0xf bank_mask:0xf// 000000006080: 0B3332FA FF015D10
	v_mul_f32_dpp v154, v16, v154 row_newbcast:14 row_mask:0xf bank_mask:0xf// 000000006088: 0B3534FA FF015E10
	v_mul_f32_dpp v155, v16, v155 row_newbcast:15 row_mask:0xf bank_mask:0xf// 000000006090: 0B3736FA FF015F10
	v_mul_f32_dpp v156, v16, v156 row_newbcast:12 row_mask:0xf bank_mask:0xf// 000000006098: 0B3938FA FF015C10
	v_mul_f32_dpp v157, v16, v157 row_newbcast:13 row_mask:0xf bank_mask:0xf// 0000000060A0: 0B3B3AFA FF015D10
	v_mul_f32_dpp v158, v16, v158 row_newbcast:14 row_mask:0xf bank_mask:0xf// 0000000060A8: 0B3D3CFA FF015E10
	v_mul_f32_dpp v159, v16, v159 row_newbcast:15 row_mask:0xf bank_mask:0xf// 0000000060B0: 0B3F3EFA FF015F10
	v_mul_f32_dpp v160, v17, v160 row_newbcast:0 row_mask:0xf bank_mask:0xf// 0000000060B8: 0B4140FA FF015011
	v_mul_f32_dpp v161, v17, v161 row_newbcast:1 row_mask:0xf bank_mask:0xf// 0000000060C0: 0B4342FA FF015111
	v_mul_f32_dpp v162, v17, v162 row_newbcast:2 row_mask:0xf bank_mask:0xf// 0000000060C8: 0B4544FA FF015211
	v_mul_f32_dpp v163, v17, v163 row_newbcast:3 row_mask:0xf bank_mask:0xf// 0000000060D0: 0B4746FA FF015311
	v_mul_f32_dpp v164, v17, v164 row_newbcast:0 row_mask:0xf bank_mask:0xf// 0000000060D8: 0B4948FA FF015011
	v_mul_f32_dpp v165, v17, v165 row_newbcast:1 row_mask:0xf bank_mask:0xf// 0000000060E0: 0B4B4AFA FF015111
	v_mul_f32_dpp v166, v17, v166 row_newbcast:2 row_mask:0xf bank_mask:0xf// 0000000060E8: 0B4D4CFA FF015211
	v_mul_f32_dpp v167, v17, v167 row_newbcast:3 row_mask:0xf bank_mask:0xf// 0000000060F0: 0B4F4EFA FF015311
	v_mul_f32_dpp v64, v8, v64 row_newbcast:0 row_mask:0xf bank_mask:0xf// 0000000060F8: 0A8080FA FF015008
	v_mul_f32_dpp v65, v8, v65 row_newbcast:1 row_mask:0xf bank_mask:0xf// 000000006100: 0A8282FA FF015108
	v_mul_f32_dpp v66, v8, v66 row_newbcast:2 row_mask:0xf bank_mask:0xf// 000000006108: 0A8484FA FF015208
	v_mul_f32_dpp v67, v8, v67 row_newbcast:3 row_mask:0xf bank_mask:0xf// 000000006110: 0A8686FA FF015308
	v_mul_f32_dpp v68, v8, v68 row_newbcast:0 row_mask:0xf bank_mask:0xf// 000000006118: 0A8888FA FF015008
	v_mul_f32_dpp v69, v8, v69 row_newbcast:1 row_mask:0xf bank_mask:0xf// 000000006120: 0A8A8AFA FF015108
	v_mul_f32_dpp v70, v8, v70 row_newbcast:2 row_mask:0xf bank_mask:0xf// 000000006128: 0A8C8CFA FF015208
	v_mul_f32_dpp v71, v8, v71 row_newbcast:3 row_mask:0xf bank_mask:0xf// 000000006130: 0A8E8EFA FF015308
	v_mul_f32_dpp v72, v8, v72 row_newbcast:4 row_mask:0xf bank_mask:0xf// 000000006138: 0A9090FA FF015408
	v_mul_f32_dpp v73, v8, v73 row_newbcast:5 row_mask:0xf bank_mask:0xf// 000000006140: 0A9292FA FF015508
	v_mul_f32_dpp v74, v8, v74 row_newbcast:6 row_mask:0xf bank_mask:0xf// 000000006148: 0A9494FA FF015608
	v_mul_f32_dpp v75, v8, v75 row_newbcast:7 row_mask:0xf bank_mask:0xf// 000000006150: 0A9696FA FF015708
	v_mul_f32_dpp v76, v8, v76 row_newbcast:4 row_mask:0xf bank_mask:0xf// 000000006158: 0A9898FA FF015408
	v_mul_f32_dpp v77, v8, v77 row_newbcast:5 row_mask:0xf bank_mask:0xf// 000000006160: 0A9A9AFA FF015508
	v_mul_f32_dpp v78, v8, v78 row_newbcast:6 row_mask:0xf bank_mask:0xf// 000000006168: 0A9C9CFA FF015608
	v_mul_f32_dpp v79, v8, v79 row_newbcast:7 row_mask:0xf bank_mask:0xf// 000000006170: 0A9E9EFA FF015708
	v_mul_f32_dpp v80, v8, v80 row_newbcast:8 row_mask:0xf bank_mask:0xf// 000000006178: 0AA0A0FA FF015808
	v_mul_f32_dpp v81, v8, v81 row_newbcast:9 row_mask:0xf bank_mask:0xf// 000000006180: 0AA2A2FA FF015908
	v_mul_f32_dpp v82, v8, v82 row_newbcast:10 row_mask:0xf bank_mask:0xf// 000000006188: 0AA4A4FA FF015A08
	v_mul_f32_dpp v83, v8, v83 row_newbcast:11 row_mask:0xf bank_mask:0xf// 000000006190: 0AA6A6FA FF015B08
	v_mul_f32_dpp v84, v8, v84 row_newbcast:8 row_mask:0xf bank_mask:0xf// 000000006198: 0AA8A8FA FF015808
	v_mul_f32_dpp v85, v8, v85 row_newbcast:9 row_mask:0xf bank_mask:0xf// 0000000061A0: 0AAAAAFA FF015908
	v_mul_f32_dpp v86, v8, v86 row_newbcast:10 row_mask:0xf bank_mask:0xf// 0000000061A8: 0AACACFA FF015A08
	v_mul_f32_dpp v87, v8, v87 row_newbcast:11 row_mask:0xf bank_mask:0xf// 0000000061B0: 0AAEAEFA FF015B08
	v_mul_f32_dpp v88, v8, v88 row_newbcast:12 row_mask:0xf bank_mask:0xf// 0000000061B8: 0AB0B0FA FF015C08
	v_mul_f32_dpp v89, v8, v89 row_newbcast:13 row_mask:0xf bank_mask:0xf// 0000000061C0: 0AB2B2FA FF015D08
	v_mul_f32_dpp v90, v8, v90 row_newbcast:14 row_mask:0xf bank_mask:0xf// 0000000061C8: 0AB4B4FA FF015E08
	v_mul_f32_dpp v91, v8, v91 row_newbcast:15 row_mask:0xf bank_mask:0xf// 0000000061D0: 0AB6B6FA FF015F08
	v_mul_f32_dpp v92, v8, v92 row_newbcast:12 row_mask:0xf bank_mask:0xf// 0000000061D8: 0AB8B8FA FF015C08
	v_mul_f32_dpp v93, v8, v93 row_newbcast:13 row_mask:0xf bank_mask:0xf// 0000000061E0: 0ABABAFA FF015D08
	v_mul_f32_dpp v94, v8, v94 row_newbcast:14 row_mask:0xf bank_mask:0xf// 0000000061E8: 0ABCBCFA FF015E08
	v_mul_f32_dpp v95, v8, v95 row_newbcast:15 row_mask:0xf bank_mask:0xf// 0000000061F0: 0ABEBEFA FF015F08
	v_mul_f32_dpp v96, v9, v96 row_newbcast:0 row_mask:0xf bank_mask:0xf// 0000000061F8: 0AC0C0FA FF015009
	v_mul_f32_dpp v97, v9, v97 row_newbcast:1 row_mask:0xf bank_mask:0xf// 000000006200: 0AC2C2FA FF015109
	v_mul_f32_dpp v98, v9, v98 row_newbcast:2 row_mask:0xf bank_mask:0xf// 000000006208: 0AC4C4FA FF015209
	v_mul_f32_dpp v99, v9, v99 row_newbcast:3 row_mask:0xf bank_mask:0xf// 000000006210: 0AC6C6FA FF015309
	v_mul_f32_dpp v100, v9, v100 row_newbcast:0 row_mask:0xf bank_mask:0xf// 000000006218: 0AC8C8FA FF015009
	v_mul_f32_dpp v101, v9, v101 row_newbcast:1 row_mask:0xf bank_mask:0xf// 000000006220: 0ACACAFA FF015109
	v_mul_f32_dpp v102, v9, v102 row_newbcast:2 row_mask:0xf bank_mask:0xf// 000000006228: 0ACCCCFA FF015209
	v_mul_f32_dpp v103, v9, v103 row_newbcast:3 row_mask:0xf bank_mask:0xf// 000000006230: 0ACECEFA FF015309
	s_waitcnt vmcnt(16)                                        // 000000006238: BF8C4F70
	buffer_load_dwordx4 a[0:3], v46, s[12:15], 0 offen         // 00000000623C: E05C1000 8083002E
	v_mul_f32_e64 v42, -v128, s6                               // 000000006244: D105002A 20000D80
	v_mul_f32_e64 v43, -v129, s6                               // 00000000624C: D105002B 20000D81
	v_mul_f32_e64 v44, -v130, s6                               // 000000006254: D105002C 20000D82
	v_mul_f32_e64 v45, -v131, s6                               // 00000000625C: D105002D 20000D83
	v_exp_f32_e32 v42, v42                                     // 000000006264: 7E54412A
	v_exp_f32_e32 v43, v43                                     // 000000006268: 7E56412B
	v_exp_f32_e32 v44, v44                                     // 00000000626C: 7E58412C
	v_exp_f32_e32 v45, v45                                     // 000000006270: 7E5A412D
	buffer_load_dwordx4 a[4:7], v47, s[12:15], 0 offen         // 000000006274: E05C1000 8083042F
	v_add_f32_e64 v42, v42, 1.0                                // 00000000627C: D101002A 0001E52A
	v_add_f32_e64 v43, v43, 1.0                                // 000000006284: D101002B 0001E52B
	v_add_f32_e64 v44, v44, 1.0                                // 00000000628C: D101002C 0001E52C
	v_add_f32_e64 v45, v45, 1.0                                // 000000006294: D101002D 0001E52D
	v_rcp_f32_e32 v42, v42                                     // 00000000629C: 7E54452A
	v_rcp_f32_e32 v43, v43                                     // 0000000062A0: 7E56452B
	v_rcp_f32_e32 v44, v44                                     // 0000000062A4: 7E58452C
	v_rcp_f32_e32 v45, v45                                     // 0000000062A8: 7E5A452D
	v_pk_mul_f32 v[128:129], v[128:129], v[42:43]              // 0000000062AC: D3B14080 18025580
	v_pk_mul_f32 v[130:131], v[130:131], v[44:45]              // 0000000062B4: D3B14082 18025982
	v_pk_mul_f32 v[128:129], v[128:129], v[64:65]              // 0000000062BC: D3B14080 18028180
	v_pk_mul_f32 v[130:131], v[130:131], v[66:67]              // 0000000062C4: D3B14082 18028582
	buffer_load_dwordx4 a[8:11], v48, s[12:15], 0 offen        // 0000000062CC: E05C1000 80830830
	v_mul_f32_e64 v42, -v132, s6                               // 0000000062D4: D105002A 20000D84
	v_mul_f32_e64 v43, -v133, s6                               // 0000000062DC: D105002B 20000D85
	v_mul_f32_e64 v44, -v134, s6                               // 0000000062E4: D105002C 20000D86
	v_mul_f32_e64 v45, -v135, s6                               // 0000000062EC: D105002D 20000D87
	v_exp_f32_e32 v42, v42                                     // 0000000062F4: 7E54412A
	v_exp_f32_e32 v43, v43                                     // 0000000062F8: 7E56412B
	v_exp_f32_e32 v44, v44                                     // 0000000062FC: 7E58412C
	v_exp_f32_e32 v45, v45                                     // 000000006300: 7E5A412D
	buffer_load_dwordx4 a[12:15], v49, s[12:15], 0 offen       // 000000006304: E05C1000 80830C31
	s_add_u32 s12, s78, s12                                    // 00000000630C: 800C0C4E
	s_addc_u32 s13, 0, s13                                     // 000000006310: 820D0D80
	v_add_f32_e64 v42, v42, 1.0                                // 000000006314: D101002A 0001E52A
	v_add_f32_e64 v43, v43, 1.0                                // 00000000631C: D101002B 0001E52B
	v_add_f32_e64 v44, v44, 1.0                                // 000000006324: D101002C 0001E52C
	v_add_f32_e64 v45, v45, 1.0                                // 00000000632C: D101002D 0001E52D
	v_rcp_f32_e32 v42, v42                                     // 000000006334: 7E54452A
	v_rcp_f32_e32 v43, v43                                     // 000000006338: 7E56452B
	v_rcp_f32_e32 v44, v44                                     // 00000000633C: 7E58452C
	v_rcp_f32_e32 v45, v45                                     // 000000006340: 7E5A452D
	v_pk_mul_f32 v[132:133], v[132:133], v[42:43]              // 000000006344: D3B14084 18025584
	v_pk_mul_f32 v[134:135], v[134:135], v[44:45]              // 00000000634C: D3B14086 18025986
	v_pk_mul_f32 v[132:133], v[132:133], v[68:69]              // 000000006354: D3B14084 18028984
	v_pk_mul_f32 v[134:135], v[134:135], v[70:71]              // 00000000635C: D3B14086 18028D86
	s_waitcnt vmcnt(16)                                        // 000000006364: BF8C4F70
	buffer_load_dwordx4 a[16:19], v46, s[12:15], 0 offen       // 000000006368: E05C1000 8083102E
	v_mul_f32_e64 v42, -v136, s6                               // 000000006370: D105002A 20000D88
	v_mul_f32_e64 v43, -v137, s6                               // 000000006378: D105002B 20000D89
	v_mul_f32_e64 v44, -v138, s6                               // 000000006380: D105002C 20000D8A
	v_mul_f32_e64 v45, -v139, s6                               // 000000006388: D105002D 20000D8B
	v_exp_f32_e32 v42, v42                                     // 000000006390: 7E54412A
	v_exp_f32_e32 v43, v43                                     // 000000006394: 7E56412B
	v_exp_f32_e32 v44, v44                                     // 000000006398: 7E58412C
	v_exp_f32_e32 v45, v45                                     // 00000000639C: 7E5A412D
	buffer_load_dwordx4 a[20:23], v47, s[12:15], 0 offen       // 0000000063A0: E05C1000 8083142F
	v_add_f32_e64 v42, v42, 1.0                                // 0000000063A8: D101002A 0001E52A
	v_add_f32_e64 v43, v43, 1.0                                // 0000000063B0: D101002B 0001E52B
	v_add_f32_e64 v44, v44, 1.0                                // 0000000063B8: D101002C 0001E52C
	v_add_f32_e64 v45, v45, 1.0                                // 0000000063C0: D101002D 0001E52D
	v_rcp_f32_e32 v42, v42                                     // 0000000063C8: 7E54452A
	v_rcp_f32_e32 v43, v43                                     // 0000000063CC: 7E56452B
	v_rcp_f32_e32 v44, v44                                     // 0000000063D0: 7E58452C
	v_rcp_f32_e32 v45, v45                                     // 0000000063D4: 7E5A452D
	v_pk_mul_f32 v[136:137], v[136:137], v[42:43]              // 0000000063D8: D3B14088 18025588
	v_pk_mul_f32 v[138:139], v[138:139], v[44:45]              // 0000000063E0: D3B1408A 1802598A
	v_pk_mul_f32 v[136:137], v[136:137], v[72:73]              // 0000000063E8: D3B14088 18029188
	v_pk_mul_f32 v[138:139], v[138:139], v[74:75]              // 0000000063F0: D3B1408A 1802958A
	buffer_load_dwordx4 a[24:27], v48, s[12:15], 0 offen       // 0000000063F8: E05C1000 80831830
	v_mul_f32_e64 v42, -v140, s6                               // 000000006400: D105002A 20000D8C
	v_mul_f32_e64 v43, -v141, s6                               // 000000006408: D105002B 20000D8D
	v_mul_f32_e64 v44, -v142, s6                               // 000000006410: D105002C 20000D8E
	v_mul_f32_e64 v45, -v143, s6                               // 000000006418: D105002D 20000D8F
	v_exp_f32_e32 v42, v42                                     // 000000006420: 7E54412A
	v_exp_f32_e32 v43, v43                                     // 000000006424: 7E56412B
	v_exp_f32_e32 v44, v44                                     // 000000006428: 7E58412C
	v_exp_f32_e32 v45, v45                                     // 00000000642C: 7E5A412D
	buffer_load_dwordx4 a[28:31], v49, s[12:15], 0 offen       // 000000006430: E05C1000 80831C31
	s_add_u32 s12, s78, s12                                    // 000000006438: 800C0C4E
	s_addc_u32 s13, 0, s13                                     // 00000000643C: 820D0D80
	v_add_f32_e64 v42, v42, 1.0                                // 000000006440: D101002A 0001E52A
	v_add_f32_e64 v43, v43, 1.0                                // 000000006448: D101002B 0001E52B
	v_add_f32_e64 v44, v44, 1.0                                // 000000006450: D101002C 0001E52C
	v_add_f32_e64 v45, v45, 1.0                                // 000000006458: D101002D 0001E52D
	v_rcp_f32_e32 v42, v42                                     // 000000006460: 7E54452A
	v_rcp_f32_e32 v43, v43                                     // 000000006464: 7E56452B
	v_rcp_f32_e32 v44, v44                                     // 000000006468: 7E58452C
	v_rcp_f32_e32 v45, v45                                     // 00000000646C: 7E5A452D
	v_pk_mul_f32 v[140:141], v[140:141], v[42:43]              // 000000006470: D3B1408C 1802558C
	v_pk_mul_f32 v[142:143], v[142:143], v[44:45]              // 000000006478: D3B1408E 1802598E
	v_pk_mul_f32 v[140:141], v[140:141], v[76:77]              // 000000006480: D3B1408C 1802998C
	v_pk_mul_f32 v[142:143], v[142:143], v[78:79]              // 000000006488: D3B1408E 18029D8E
	s_waitcnt vmcnt(16)                                        // 000000006490: BF8C4F70
	buffer_load_dwordx4 a[32:35], v46, s[12:15], 0 offen       // 000000006494: E05C1000 8083202E
	v_mul_f32_e64 v42, -v144, s6                               // 00000000649C: D105002A 20000D90
	v_mul_f32_e64 v43, -v145, s6                               // 0000000064A4: D105002B 20000D91
	v_mul_f32_e64 v44, -v146, s6                               // 0000000064AC: D105002C 20000D92
	v_mul_f32_e64 v45, -v147, s6                               // 0000000064B4: D105002D 20000D93
	v_exp_f32_e32 v42, v42                                     // 0000000064BC: 7E54412A
	v_exp_f32_e32 v43, v43                                     // 0000000064C0: 7E56412B
	v_exp_f32_e32 v44, v44                                     // 0000000064C4: 7E58412C
	v_exp_f32_e32 v45, v45                                     // 0000000064C8: 7E5A412D
	buffer_load_dwordx4 a[36:39], v47, s[12:15], 0 offen       // 0000000064CC: E05C1000 8083242F
	v_add_f32_e64 v42, v42, 1.0                                // 0000000064D4: D101002A 0001E52A
	v_add_f32_e64 v43, v43, 1.0                                // 0000000064DC: D101002B 0001E52B
	v_add_f32_e64 v44, v44, 1.0                                // 0000000064E4: D101002C 0001E52C
	v_add_f32_e64 v45, v45, 1.0                                // 0000000064EC: D101002D 0001E52D
	v_rcp_f32_e32 v42, v42                                     // 0000000064F4: 7E54452A
	v_rcp_f32_e32 v43, v43                                     // 0000000064F8: 7E56452B
	v_rcp_f32_e32 v44, v44                                     // 0000000064FC: 7E58452C
	v_rcp_f32_e32 v45, v45                                     // 000000006500: 7E5A452D
	v_pk_mul_f32 v[144:145], v[144:145], v[42:43]              // 000000006504: D3B14090 18025590
	v_pk_mul_f32 v[146:147], v[146:147], v[44:45]              // 00000000650C: D3B14092 18025992
	v_pk_mul_f32 v[144:145], v[144:145], v[80:81]              // 000000006514: D3B14090 1802A190
	v_pk_mul_f32 v[146:147], v[146:147], v[82:83]              // 00000000651C: D3B14092 1802A592
	buffer_load_dwordx4 a[40:43], v48, s[12:15], 0 offen       // 000000006524: E05C1000 80832830
	v_mul_f32_e64 v42, -v148, s6                               // 00000000652C: D105002A 20000D94
	v_mul_f32_e64 v43, -v149, s6                               // 000000006534: D105002B 20000D95
	v_mul_f32_e64 v44, -v150, s6                               // 00000000653C: D105002C 20000D96
	v_mul_f32_e64 v45, -v151, s6                               // 000000006544: D105002D 20000D97
	v_exp_f32_e32 v42, v42                                     // 00000000654C: 7E54412A
	v_exp_f32_e32 v43, v43                                     // 000000006550: 7E56412B
	v_exp_f32_e32 v44, v44                                     // 000000006554: 7E58412C
	v_exp_f32_e32 v45, v45                                     // 000000006558: 7E5A412D
	buffer_load_dwordx4 a[44:47], v49, s[12:15], 0 offen       // 00000000655C: E05C1000 80832C31
	s_add_u32 s12, s78, s12                                    // 000000006564: 800C0C4E
	s_addc_u32 s13, 0, s13                                     // 000000006568: 820D0D80
	v_add_f32_e64 v42, v42, 1.0                                // 00000000656C: D101002A 0001E52A
	v_add_f32_e64 v43, v43, 1.0                                // 000000006574: D101002B 0001E52B
	v_add_f32_e64 v44, v44, 1.0                                // 00000000657C: D101002C 0001E52C
	v_add_f32_e64 v45, v45, 1.0                                // 000000006584: D101002D 0001E52D
	v_rcp_f32_e32 v42, v42                                     // 00000000658C: 7E54452A
	v_rcp_f32_e32 v43, v43                                     // 000000006590: 7E56452B
	v_rcp_f32_e32 v44, v44                                     // 000000006594: 7E58452C
	v_rcp_f32_e32 v45, v45                                     // 000000006598: 7E5A452D
	v_pk_mul_f32 v[148:149], v[148:149], v[42:43]              // 00000000659C: D3B14094 18025594
	v_pk_mul_f32 v[150:151], v[150:151], v[44:45]              // 0000000065A4: D3B14096 18025996
	v_pk_mul_f32 v[148:149], v[148:149], v[84:85]              // 0000000065AC: D3B14094 1802A994
	v_pk_mul_f32 v[150:151], v[150:151], v[86:87]              // 0000000065B4: D3B14096 1802AD96
	s_waitcnt vmcnt(16)                                        // 0000000065BC: BF8C4F70
	buffer_load_dwordx4 a[48:51], v46, s[12:15], 0 offen       // 0000000065C0: E05C1000 8083302E
	v_mul_f32_e64 v42, -v152, s6                               // 0000000065C8: D105002A 20000D98
	v_mul_f32_e64 v43, -v153, s6                               // 0000000065D0: D105002B 20000D99
	v_mul_f32_e64 v44, -v154, s6                               // 0000000065D8: D105002C 20000D9A
	v_mul_f32_e64 v45, -v155, s6                               // 0000000065E0: D105002D 20000D9B
	v_exp_f32_e32 v42, v42                                     // 0000000065E8: 7E54412A
	v_exp_f32_e32 v43, v43                                     // 0000000065EC: 7E56412B
	v_exp_f32_e32 v44, v44                                     // 0000000065F0: 7E58412C
	v_exp_f32_e32 v45, v45                                     // 0000000065F4: 7E5A412D
	buffer_load_dwordx4 a[52:55], v47, s[12:15], 0 offen       // 0000000065F8: E05C1000 8083342F
	v_add_f32_e64 v42, v42, 1.0                                // 000000006600: D101002A 0001E52A
	v_add_f32_e64 v43, v43, 1.0                                // 000000006608: D101002B 0001E52B
	v_add_f32_e64 v44, v44, 1.0                                // 000000006610: D101002C 0001E52C
	v_add_f32_e64 v45, v45, 1.0                                // 000000006618: D101002D 0001E52D
	v_rcp_f32_e32 v42, v42                                     // 000000006620: 7E54452A
	v_rcp_f32_e32 v43, v43                                     // 000000006624: 7E56452B
	v_rcp_f32_e32 v44, v44                                     // 000000006628: 7E58452C
	v_rcp_f32_e32 v45, v45                                     // 00000000662C: 7E5A452D
	v_pk_mul_f32 v[152:153], v[152:153], v[42:43]              // 000000006630: D3B14098 18025598
	v_pk_mul_f32 v[154:155], v[154:155], v[44:45]              // 000000006638: D3B1409A 1802599A
	v_pk_mul_f32 v[152:153], v[152:153], v[88:89]              // 000000006640: D3B14098 1802B198
	v_pk_mul_f32 v[154:155], v[154:155], v[90:91]              // 000000006648: D3B1409A 1802B59A
	buffer_load_dwordx4 a[56:59], v48, s[12:15], 0 offen       // 000000006650: E05C1000 80833830
	v_mul_f32_e64 v42, -v156, s6                               // 000000006658: D105002A 20000D9C
	v_mul_f32_e64 v43, -v157, s6                               // 000000006660: D105002B 20000D9D
	v_mul_f32_e64 v44, -v158, s6                               // 000000006668: D105002C 20000D9E
	v_mul_f32_e64 v45, -v159, s6                               // 000000006670: D105002D 20000D9F
	v_exp_f32_e32 v42, v42                                     // 000000006678: 7E54412A
	v_exp_f32_e32 v43, v43                                     // 00000000667C: 7E56412B
	v_exp_f32_e32 v44, v44                                     // 000000006680: 7E58412C
	v_exp_f32_e32 v45, v45                                     // 000000006684: 7E5A412D
	buffer_load_dwordx4 a[60:63], v49, s[12:15], 0 offen       // 000000006688: E05C1000 80833C31
	s_add_u32 s12, s78, s12                                    // 000000006690: 800C0C4E
	s_addc_u32 s13, 0, s13                                     // 000000006694: 820D0D80
	v_add_f32_e64 v42, v42, 1.0                                // 000000006698: D101002A 0001E52A
	v_add_f32_e64 v43, v43, 1.0                                // 0000000066A0: D101002B 0001E52B
	v_add_f32_e64 v44, v44, 1.0                                // 0000000066A8: D101002C 0001E52C
	v_add_f32_e64 v45, v45, 1.0                                // 0000000066B0: D101002D 0001E52D
	v_rcp_f32_e32 v42, v42                                     // 0000000066B8: 7E54452A
	v_rcp_f32_e32 v43, v43                                     // 0000000066BC: 7E56452B
	v_rcp_f32_e32 v44, v44                                     // 0000000066C0: 7E58452C
	v_rcp_f32_e32 v45, v45                                     // 0000000066C4: 7E5A452D
	v_pk_mul_f32 v[156:157], v[156:157], v[42:43]              // 0000000066C8: D3B1409C 1802559C
	v_pk_mul_f32 v[158:159], v[158:159], v[44:45]              // 0000000066D0: D3B1409E 1802599E
	v_pk_mul_f32 v[156:157], v[156:157], v[92:93]              // 0000000066D8: D3B1409C 1802B99C
	v_pk_mul_f32 v[158:159], v[158:159], v[94:95]              // 0000000066E0: D3B1409E 1802BD9E
	s_waitcnt vmcnt(16)                                        // 0000000066E8: BF8C4F70
	buffer_load_dwordx4 a[64:67], v46, s[12:15], 0 offen       // 0000000066EC: E05C1000 8083402E
	v_mul_f32_e64 v42, -v160, s6                               // 0000000066F4: D105002A 20000DA0
	v_mul_f32_e64 v43, -v161, s6                               // 0000000066FC: D105002B 20000DA1
	v_mul_f32_e64 v44, -v162, s6                               // 000000006704: D105002C 20000DA2
	v_mul_f32_e64 v45, -v163, s6                               // 00000000670C: D105002D 20000DA3
	v_exp_f32_e32 v42, v42                                     // 000000006714: 7E54412A
	v_exp_f32_e32 v43, v43                                     // 000000006718: 7E56412B
	v_exp_f32_e32 v44, v44                                     // 00000000671C: 7E58412C
	v_exp_f32_e32 v45, v45                                     // 000000006720: 7E5A412D
	buffer_load_dwordx4 a[68:71], v47, s[12:15], 0 offen       // 000000006724: E05C1000 8083442F
	v_add_f32_e64 v42, v42, 1.0                                // 00000000672C: D101002A 0001E52A
	v_add_f32_e64 v43, v43, 1.0                                // 000000006734: D101002B 0001E52B
	v_add_f32_e64 v44, v44, 1.0                                // 00000000673C: D101002C 0001E52C
	v_add_f32_e64 v45, v45, 1.0                                // 000000006744: D101002D 0001E52D
	v_rcp_f32_e32 v42, v42                                     // 00000000674C: 7E54452A
	v_rcp_f32_e32 v43, v43                                     // 000000006750: 7E56452B
	v_rcp_f32_e32 v44, v44                                     // 000000006754: 7E58452C
	v_rcp_f32_e32 v45, v45                                     // 000000006758: 7E5A452D
	v_pk_mul_f32 v[160:161], v[160:161], v[42:43]              // 00000000675C: D3B140A0 180255A0
	v_pk_mul_f32 v[162:163], v[162:163], v[44:45]              // 000000006764: D3B140A2 180259A2
	v_pk_mul_f32 v[160:161], v[160:161], v[96:97]              // 00000000676C: D3B140A0 1802C1A0
	v_pk_mul_f32 v[162:163], v[162:163], v[98:99]              // 000000006774: D3B140A2 1802C5A2
	buffer_load_dwordx4 a[72:75], v48, s[12:15], 0 offen       // 00000000677C: E05C1000 80834830
	v_mul_f32_e64 v42, -v164, s6                               // 000000006784: D105002A 20000DA4
	v_mul_f32_e64 v43, -v165, s6                               // 00000000678C: D105002B 20000DA5
	v_mul_f32_e64 v44, -v166, s6                               // 000000006794: D105002C 20000DA6
	v_mul_f32_e64 v45, -v167, s6                               // 00000000679C: D105002D 20000DA7
	v_exp_f32_e32 v42, v42                                     // 0000000067A4: 7E54412A
	v_exp_f32_e32 v43, v43                                     // 0000000067A8: 7E56412B
	v_exp_f32_e32 v44, v44                                     // 0000000067AC: 7E58412C
	v_exp_f32_e32 v45, v45                                     // 0000000067B0: 7E5A412D
	buffer_load_dwordx4 a[76:79], v49, s[12:15], 0 offen       // 0000000067B4: E05C1000 80834C31
	v_add_f32_e64 v42, v42, 1.0                                // 0000000067BC: D101002A 0001E52A
	v_add_f32_e64 v43, v43, 1.0                                // 0000000067C4: D101002B 0001E52B
	v_add_f32_e64 v44, v44, 1.0                                // 0000000067CC: D101002C 0001E52C
	v_add_f32_e64 v45, v45, 1.0                                // 0000000067D4: D101002D 0001E52D
	v_rcp_f32_e32 v42, v42                                     // 0000000067DC: 7E54452A
	v_rcp_f32_e32 v43, v43                                     // 0000000067E0: 7E56452B
	v_rcp_f32_e32 v44, v44                                     // 0000000067E4: 7E58452C
	v_rcp_f32_e32 v45, v45                                     // 0000000067E8: 7E5A452D
	v_pk_mul_f32 v[164:165], v[164:165], v[42:43]              // 0000000067EC: D3B140A4 180255A4
	v_pk_mul_f32 v[166:167], v[166:167], v[44:45]              // 0000000067F4: D3B140A6 180259A6
	v_pk_mul_f32 v[164:165], v[164:165], v[100:101]            // 0000000067FC: D3B140A4 1802C9A4
	v_pk_mul_f32 v[166:167], v[166:167], v[102:103]            // 000000006804: D3B140A6 1802CDA6
	v_mul_f32_dpp v128, v18, v128 row_newbcast:0 row_mask:0xf bank_mask:0xf// 00000000680C: 0B0100FA FF015012
	v_mul_f32_dpp v129, v18, v129 row_newbcast:1 row_mask:0xf bank_mask:0xf// 000000006814: 0B0302FA FF015112
	v_mul_f32_dpp v130, v18, v130 row_newbcast:2 row_mask:0xf bank_mask:0xf// 00000000681C: 0B0504FA FF015212
	v_mul_f32_dpp v131, v18, v131 row_newbcast:3 row_mask:0xf bank_mask:0xf// 000000006824: 0B0706FA FF015312
	v_mul_f32_dpp v132, v18, v132 row_newbcast:0 row_mask:0xf bank_mask:0xf// 00000000682C: 0B0908FA FF015012
	v_mul_f32_dpp v133, v18, v133 row_newbcast:1 row_mask:0xf bank_mask:0xf// 000000006834: 0B0B0AFA FF015112
	v_mul_f32_dpp v134, v18, v134 row_newbcast:2 row_mask:0xf bank_mask:0xf// 00000000683C: 0B0D0CFA FF015212
	v_mul_f32_dpp v135, v18, v135 row_newbcast:3 row_mask:0xf bank_mask:0xf// 000000006844: 0B0F0EFA FF015312
	v_mul_f32_dpp v136, v18, v136 row_newbcast:4 row_mask:0xf bank_mask:0xf// 00000000684C: 0B1110FA FF015412
	v_mul_f32_dpp v137, v18, v137 row_newbcast:5 row_mask:0xf bank_mask:0xf// 000000006854: 0B1312FA FF015512
	v_mul_f32_dpp v138, v18, v138 row_newbcast:6 row_mask:0xf bank_mask:0xf// 00000000685C: 0B1514FA FF015612
	v_mul_f32_dpp v139, v18, v139 row_newbcast:7 row_mask:0xf bank_mask:0xf// 000000006864: 0B1716FA FF015712
	v_mul_f32_dpp v140, v18, v140 row_newbcast:4 row_mask:0xf bank_mask:0xf// 00000000686C: 0B1918FA FF015412
	v_mul_f32_dpp v141, v18, v141 row_newbcast:5 row_mask:0xf bank_mask:0xf// 000000006874: 0B1B1AFA FF015512
	v_mul_f32_dpp v142, v18, v142 row_newbcast:6 row_mask:0xf bank_mask:0xf// 00000000687C: 0B1D1CFA FF015612
	v_mul_f32_dpp v143, v18, v143 row_newbcast:7 row_mask:0xf bank_mask:0xf// 000000006884: 0B1F1EFA FF015712
	v_mul_f32_dpp v144, v18, v144 row_newbcast:8 row_mask:0xf bank_mask:0xf// 00000000688C: 0B2120FA FF015812
	v_mul_f32_dpp v145, v18, v145 row_newbcast:9 row_mask:0xf bank_mask:0xf// 000000006894: 0B2322FA FF015912
	v_mul_f32_dpp v146, v18, v146 row_newbcast:10 row_mask:0xf bank_mask:0xf// 00000000689C: 0B2524FA FF015A12
	v_mul_f32_dpp v147, v18, v147 row_newbcast:11 row_mask:0xf bank_mask:0xf// 0000000068A4: 0B2726FA FF015B12
	v_mul_f32_dpp v148, v18, v148 row_newbcast:8 row_mask:0xf bank_mask:0xf// 0000000068AC: 0B2928FA FF015812
	v_mul_f32_dpp v149, v18, v149 row_newbcast:9 row_mask:0xf bank_mask:0xf// 0000000068B4: 0B2B2AFA FF015912
	v_mul_f32_dpp v150, v18, v150 row_newbcast:10 row_mask:0xf bank_mask:0xf// 0000000068BC: 0B2D2CFA FF015A12
	v_mul_f32_dpp v151, v18, v151 row_newbcast:11 row_mask:0xf bank_mask:0xf// 0000000068C4: 0B2F2EFA FF015B12
	v_mul_f32_dpp v152, v18, v152 row_newbcast:12 row_mask:0xf bank_mask:0xf// 0000000068CC: 0B3130FA FF015C12
	v_mul_f32_dpp v153, v18, v153 row_newbcast:13 row_mask:0xf bank_mask:0xf// 0000000068D4: 0B3332FA FF015D12
	v_mul_f32_dpp v154, v18, v154 row_newbcast:14 row_mask:0xf bank_mask:0xf// 0000000068DC: 0B3534FA FF015E12
	v_mul_f32_dpp v155, v18, v155 row_newbcast:15 row_mask:0xf bank_mask:0xf// 0000000068E4: 0B3736FA FF015F12
	v_mul_f32_dpp v156, v18, v156 row_newbcast:12 row_mask:0xf bank_mask:0xf// 0000000068EC: 0B3938FA FF015C12
	v_mul_f32_dpp v157, v18, v157 row_newbcast:13 row_mask:0xf bank_mask:0xf// 0000000068F4: 0B3B3AFA FF015D12
	v_mul_f32_dpp v158, v18, v158 row_newbcast:14 row_mask:0xf bank_mask:0xf// 0000000068FC: 0B3D3CFA FF015E12
	v_mul_f32_dpp v159, v18, v159 row_newbcast:15 row_mask:0xf bank_mask:0xf// 000000006904: 0B3F3EFA FF015F12
	v_mul_f32_dpp v160, v19, v160 row_newbcast:0 row_mask:0xf bank_mask:0xf// 00000000690C: 0B4140FA FF015013
	v_mul_f32_dpp v161, v19, v161 row_newbcast:1 row_mask:0xf bank_mask:0xf// 000000006914: 0B4342FA FF015113
	v_mul_f32_dpp v162, v19, v162 row_newbcast:2 row_mask:0xf bank_mask:0xf// 00000000691C: 0B4544FA FF015213
	v_mul_f32_dpp v163, v19, v163 row_newbcast:3 row_mask:0xf bank_mask:0xf// 000000006924: 0B4746FA FF015313
	v_mul_f32_dpp v164, v19, v164 row_newbcast:0 row_mask:0xf bank_mask:0xf// 00000000692C: 0B4948FA FF015013
	v_mul_f32_dpp v165, v19, v165 row_newbcast:1 row_mask:0xf bank_mask:0xf// 000000006934: 0B4B4AFA FF015113
	v_mul_f32_dpp v166, v19, v166 row_newbcast:2 row_mask:0xf bank_mask:0xf// 00000000693C: 0B4D4CFA FF015213
	v_mul_f32_dpp v167, v19, v167 row_newbcast:3 row_mask:0xf bank_mask:0xf// 000000006944: 0B4F4EFA FF015313
	v_lshlrev_b32_e32 v42, 2, v0                               // 00000000694C: 24540082
	s_mul_i32 s60, s82, s71                                    // 000000006950: 923C4752
	v_add_u32_e64 v80, v42, s60                                // 000000006954: D1340050 0000792A
	v_mov_b32_e32 v81, 0                                       // 00000000695C: 7EA20280
	s_mul_i32 s60, s83, s71                                    // 000000006960: 923C4753
	v_add_u32_e64 v82, v42, s60                                // 000000006964: D1340052 0000792A
	v_mov_b32_e32 v83, 0                                       // 00000000696C: 7EA60280
	s_mul_i32 s60, s84, s71                                    // 000000006970: 923C4754
	v_add_u32_e64 v84, v42, s60                                // 000000006974: D1340054 0000792A
	v_mov_b32_e32 v85, 0                                       // 00000000697C: 7EAA0280
	s_mul_i32 s60, s85, s71                                    // 000000006980: 923C4755
	v_add_u32_e64 v86, v42, s60                                // 000000006984: D1340056 0000792A
	v_mov_b32_e32 v87, 0                                       // 00000000698C: 7EAE0280
	s_mul_i32 s60, s86, s71                                    // 000000006990: 923C4756
	v_add_u32_e64 v88, v42, s60                                // 000000006994: D1340058 0000792A
	v_mov_b32_e32 v89, 0                                       // 00000000699C: 7EB20280
	s_mul_i32 s60, s87, s71                                    // 0000000069A0: 923C4757
	v_add_u32_e64 v90, v42, s60                                // 0000000069A4: D134005A 0000792A
	v_mov_b32_e32 v91, 0                                       // 0000000069AC: 7EB60280
	s_mul_i32 s60, s88, s71                                    // 0000000069B0: 923C4758
	v_add_u32_e64 v92, v42, s60                                // 0000000069B4: D134005C 0000792A
	v_mov_b32_e32 v93, 0                                       // 0000000069BC: 7EBA0280
	s_mul_i32 s60, s89, s71                                    // 0000000069C0: 923C4759
	v_add_u32_e64 v94, v42, s60                                // 0000000069C4: D134005E 0000792A
	v_mov_b32_e32 v95, 0                                       // 0000000069CC: 7EBE0280
	buffer_load_dword v12, v5, s[16:19], 0 offen               // 0000000069D0: E0501000 80040C05
	v_mov_b32_e32 v22, 0x358637bd                              // 0000000069D8: 7E2C02FF 358637BD
	v_mov_b32_e32 v23, 0x358637bd                              // 0000000069E0: 7E2E02FF 358637BD
	v_max3_f32 v22, |v128|, |v129|, v22                        // 0000000069E8: D1D30316 045B0380
	v_max3_f32 v22, |v130|, |v131|, v22                        // 0000000069F0: D1D30316 045B0782
	v_max3_f32 v23, |v132|, |v133|, v23                        // 0000000069F8: D1D30317 045F0B84
	v_max3_f32 v23, |v134|, |v135|, v23                        // 000000006A00: D1D30317 045F0F86
	v_max3_f32 v22, |v136|, |v137|, v22                        // 000000006A08: D1D30316 045B1388
	v_max3_f32 v22, |v138|, |v139|, v22                        // 000000006A10: D1D30316 045B178A
	v_max3_f32 v23, |v140|, |v141|, v23                        // 000000006A18: D1D30317 045F1B8C
	v_max3_f32 v23, |v142|, |v143|, v23                        // 000000006A20: D1D30317 045F1F8E
	v_max3_f32 v22, |v144|, |v145|, v22                        // 000000006A28: D1D30316 045B2390
	v_max3_f32 v22, |v146|, |v147|, v22                        // 000000006A30: D1D30316 045B2792
	v_max3_f32 v23, |v148|, |v149|, v23                        // 000000006A38: D1D30317 045F2B94
	v_max3_f32 v23, |v150|, |v151|, v23                        // 000000006A40: D1D30317 045F2F96
	v_max3_f32 v22, |v152|, |v153|, v22                        // 000000006A48: D1D30316 045B3398
	v_max3_f32 v22, |v154|, |v155|, v22                        // 000000006A50: D1D30316 045B379A
	v_max3_f32 v23, |v156|, |v157|, v23                        // 000000006A58: D1D30317 045F3B9C
	v_max3_f32 v23, |v158|, |v159|, v23                        // 000000006A60: D1D30317 045F3F9E
	v_max3_f32 v22, |v160|, |v161|, v22                        // 000000006A68: D1D30316 045B43A0
	v_max3_f32 v22, |v162|, |v163|, v22                        // 000000006A70: D1D30316 045B47A2
	v_max3_f32 v23, |v164|, |v165|, v23                        // 000000006A78: D1D30317 045F4BA4
	v_max3_f32 v23, |v166|, |v167|, v23                        // 000000006A80: D1D30317 045F4FA6
	v_lshlrev_b32_e32 v42, 3, v0                               // 000000006A88: 24540083
	s_mul_i32 s60, 0x200, s5                                   // 000000006A8C: 923C05FF 00000200
	v_add_u32_e32 v42, s60, v42                                // 000000006A94: 6854543C
	ds_write_b64 v42, v[22:23]                                 // 000000006A98: D89A0000 0000162A
	s_waitcnt lgkmcnt(0)                                       // 000000006AA0: BF8CC07F
	s_barrier                                                  // 000000006AA4: BF8A0000
	v_and_b32_e32 v42, 15, v0                                  // 000000006AA8: 2654008F
	v_lshlrev_b32_e32 v42, 3, v42                              // 000000006AAC: 24545483
	ds_read_b64 v[96:97], v42                                  // 000000006AB0: D8EC0000 6000002A
	ds_read_b64 v[98:99], v42 offset:128                       // 000000006AB8: D8EC0080 6200002A
	ds_read_b64 v[100:101], v42 offset:256                     // 000000006AC0: D8EC0100 6400002A
	ds_read_b64 v[102:103], v42 offset:384                     // 000000006AC8: D8EC0180 6600002A
	ds_read_b64 v[104:105], v42 offset:512                     // 000000006AD0: D8EC0200 6800002A
	ds_read_b64 v[106:107], v42 offset:640                     // 000000006AD8: D8EC0280 6A00002A
	ds_read_b64 v[108:109], v42 offset:768                     // 000000006AE0: D8EC0300 6C00002A
	ds_read_b64 v[110:111], v42 offset:896                     // 000000006AE8: D8EC0380 6E00002A
	ds_read_b64 v[112:113], v42 offset:1024                    // 000000006AF0: D8EC0400 7000002A
	ds_read_b64 v[114:115], v42 offset:1152                    // 000000006AF8: D8EC0480 7200002A
	ds_read_b64 v[116:117], v42 offset:1280                    // 000000006B00: D8EC0500 7400002A
	ds_read_b64 v[118:119], v42 offset:1408                    // 000000006B08: D8EC0580 7600002A
	ds_read_b64 v[120:121], v42 offset:1536                    // 000000006B10: D8EC0600 7800002A
	ds_read_b64 v[122:123], v42 offset:1664                    // 000000006B18: D8EC0680 7A00002A
	ds_read_b64 v[124:125], v42 offset:1792                    // 000000006B20: D8EC0700 7C00002A
	ds_read_b64 v[126:127], v42 offset:1920                    // 000000006B28: D8EC0780 7E00002A
	s_waitcnt lgkmcnt(0)                                       // 000000006B30: BF8CC07F
	v_max3_f32 v22, |v96|, |v98|, v22                          // 000000006B34: D1D30316 045AC560
	v_max3_f32 v23, |v97|, |v99|, v23                          // 000000006B3C: D1D30317 045EC761
	v_max3_f32 v22, |v100|, |v102|, v22                        // 000000006B44: D1D30316 045ACD64
	v_max3_f32 v23, |v101|, |v103|, v23                        // 000000006B4C: D1D30317 045ECF65
	v_max3_f32 v22, |v104|, |v106|, v22                        // 000000006B54: D1D30316 045AD568
	v_max3_f32 v23, |v105|, |v107|, v23                        // 000000006B5C: D1D30317 045ED769
	v_max3_f32 v22, |v108|, |v110|, v22                        // 000000006B64: D1D30316 045ADD6C
	v_max3_f32 v23, |v109|, |v111|, v23                        // 000000006B6C: D1D30317 045EDF6D
	v_max3_f32 v22, |v112|, |v114|, v22                        // 000000006B74: D1D30316 045AE570
	v_max3_f32 v23, |v113|, |v115|, v23                        // 000000006B7C: D1D30317 045EE771
	v_max3_f32 v22, |v116|, |v118|, v22                        // 000000006B84: D1D30316 045AED74
	v_max3_f32 v23, |v117|, |v119|, v23                        // 000000006B8C: D1D30317 045EEF75
	v_max3_f32 v22, |v120|, |v122|, v22                        // 000000006B94: D1D30316 045AF578
	v_max3_f32 v23, |v121|, |v123|, v23                        // 000000006B9C: D1D30317 045EF779
	v_max3_f32 v22, |v124|, |v126|, v22                        // 000000006BA4: D1D30316 045AFD7C
	v_max3_f32 v23, |v125|, |v127|, v23                        // 000000006BAC: D1D30317 045EFF7D
	v_rcp_f32_e32 v22, v22                                     // 000000006BB4: 7E2C4516
	v_rcp_f32_e32 v23, v23                                     // 000000006BB8: 7E2E4517
	v_mov_b32_e32 v42, 0x42fe0000                              // 000000006BBC: 7E5402FF 42FE0000
	v_mul_f32_e32 v22, v42, v22                                // 000000006BC4: 0A2C2D2A
	v_mul_f32_e32 v23, v42, v23                                // 000000006BC8: 0A2E2F2A
	v_mul_f32_e32 v128, v22, v128                              // 000000006BCC: 0B010116
	v_mul_f32_e32 v129, v22, v129                              // 000000006BD0: 0B030316
	v_mul_f32_e32 v130, v22, v130                              // 000000006BD4: 0B050516
	v_mul_f32_e32 v131, v22, v131                              // 000000006BD8: 0B070716
	v_cvt_i32_f32_e32 v128, v128                               // 000000006BDC: 7F001180
	v_cvt_i32_f32_e32 v129, v129                               // 000000006BE0: 7F021181
	v_cvt_i32_f32_e32 v130, v130                               // 000000006BE4: 7F041182
	v_cvt_i32_f32_e32 v131, v131                               // 000000006BE8: 7F061183
	v_perm_b32 v128, v129, v128, s53                           // 000000006BEC: D1ED0080 00D70181
	v_perm_b32 v128, v130, v128, s54                           // 000000006BF4: D1ED0080 00DB0182
	v_perm_b32 v128, v131, v128, s55                           // 000000006BFC: D1ED0080 00DF0183
	v_mul_f32_e32 v132, v23, v132                              // 000000006C04: 0B090917
	v_mul_f32_e32 v133, v23, v133                              // 000000006C08: 0B0B0B17
	v_mul_f32_e32 v134, v23, v134                              // 000000006C0C: 0B0D0D17
	v_mul_f32_e32 v135, v23, v135                              // 000000006C10: 0B0F0F17
	v_cvt_i32_f32_e32 v132, v132                               // 000000006C14: 7F081184
	v_cvt_i32_f32_e32 v133, v133                               // 000000006C18: 7F0A1185
	v_cvt_i32_f32_e32 v134, v134                               // 000000006C1C: 7F0C1186
	v_cvt_i32_f32_e32 v135, v135                               // 000000006C20: 7F0E1187
	v_perm_b32 v129, v133, v132, s53                           // 000000006C24: D1ED0081 00D70985
	v_perm_b32 v129, v134, v129, s54                           // 000000006C2C: D1ED0081 00DB0386
	v_perm_b32 v129, v135, v129, s55                           // 000000006C34: D1ED0081 00DF0387
	v_mul_f32_e32 v136, v22, v136                              // 000000006C3C: 0B111116
	v_mul_f32_e32 v137, v22, v137                              // 000000006C40: 0B131316
	v_mul_f32_e32 v138, v22, v138                              // 000000006C44: 0B151516
	v_mul_f32_e32 v139, v22, v139                              // 000000006C48: 0B171716
	v_cvt_i32_f32_e32 v136, v136                               // 000000006C4C: 7F101188
	v_cvt_i32_f32_e32 v137, v137                               // 000000006C50: 7F121189
	v_cvt_i32_f32_e32 v138, v138                               // 000000006C54: 7F14118A
	v_cvt_i32_f32_e32 v139, v139                               // 000000006C58: 7F16118B
	v_perm_b32 v130, v137, v136, s53                           // 000000006C5C: D1ED0082 00D71189
	v_perm_b32 v130, v138, v130, s54                           // 000000006C64: D1ED0082 00DB058A
	v_perm_b32 v130, v139, v130, s55                           // 000000006C6C: D1ED0082 00DF058B
	v_mul_f32_e32 v140, v23, v140                              // 000000006C74: 0B191917
	v_mul_f32_e32 v141, v23, v141                              // 000000006C78: 0B1B1B17
	v_mul_f32_e32 v142, v23, v142                              // 000000006C7C: 0B1D1D17
	v_mul_f32_e32 v143, v23, v143                              // 000000006C80: 0B1F1F17
	v_cvt_i32_f32_e32 v140, v140                               // 000000006C84: 7F18118C
	v_cvt_i32_f32_e32 v141, v141                               // 000000006C88: 7F1A118D
	v_cvt_i32_f32_e32 v142, v142                               // 000000006C8C: 7F1C118E
	v_cvt_i32_f32_e32 v143, v143                               // 000000006C90: 7F1E118F
	v_perm_b32 v131, v141, v140, s53                           // 000000006C94: D1ED0083 00D7198D
	v_perm_b32 v131, v142, v131, s54                           // 000000006C9C: D1ED0083 00DB078E
	v_perm_b32 v131, v143, v131, s55                           // 000000006CA4: D1ED0083 00DF078F
	v_mul_f32_e32 v144, v22, v144                              // 000000006CAC: 0B212116
	v_mul_f32_e32 v145, v22, v145                              // 000000006CB0: 0B232316
	v_mul_f32_e32 v146, v22, v146                              // 000000006CB4: 0B252516
	v_mul_f32_e32 v147, v22, v147                              // 000000006CB8: 0B272716
	v_cvt_i32_f32_e32 v144, v144                               // 000000006CBC: 7F201190
	v_cvt_i32_f32_e32 v145, v145                               // 000000006CC0: 7F221191
	v_cvt_i32_f32_e32 v146, v146                               // 000000006CC4: 7F241192
	v_cvt_i32_f32_e32 v147, v147                               // 000000006CC8: 7F261193
	v_perm_b32 v132, v145, v144, s53                           // 000000006CCC: D1ED0084 00D72191
	v_perm_b32 v132, v146, v132, s54                           // 000000006CD4: D1ED0084 00DB0992
	v_perm_b32 v132, v147, v132, s55                           // 000000006CDC: D1ED0084 00DF0993
	v_mul_f32_e32 v148, v23, v148                              // 000000006CE4: 0B292917
	v_mul_f32_e32 v149, v23, v149                              // 000000006CE8: 0B2B2B17
	v_mul_f32_e32 v150, v23, v150                              // 000000006CEC: 0B2D2D17
	v_mul_f32_e32 v151, v23, v151                              // 000000006CF0: 0B2F2F17
	v_cvt_i32_f32_e32 v148, v148                               // 000000006CF4: 7F281194
	v_cvt_i32_f32_e32 v149, v149                               // 000000006CF8: 7F2A1195
	v_cvt_i32_f32_e32 v150, v150                               // 000000006CFC: 7F2C1196
	v_cvt_i32_f32_e32 v151, v151                               // 000000006D00: 7F2E1197
	v_perm_b32 v133, v149, v148, s53                           // 000000006D04: D1ED0085 00D72995
	v_perm_b32 v133, v150, v133, s54                           // 000000006D0C: D1ED0085 00DB0B96
	v_perm_b32 v133, v151, v133, s55                           // 000000006D14: D1ED0085 00DF0B97
	v_mul_f32_e32 v152, v22, v152                              // 000000006D1C: 0B313116
	v_mul_f32_e32 v153, v22, v153                              // 000000006D20: 0B333316
	v_mul_f32_e32 v154, v22, v154                              // 000000006D24: 0B353516
	v_mul_f32_e32 v155, v22, v155                              // 000000006D28: 0B373716
	v_cvt_i32_f32_e32 v152, v152                               // 000000006D2C: 7F301198
	v_cvt_i32_f32_e32 v153, v153                               // 000000006D30: 7F321199
	v_cvt_i32_f32_e32 v154, v154                               // 000000006D34: 7F34119A
	v_cvt_i32_f32_e32 v155, v155                               // 000000006D38: 7F36119B
	v_perm_b32 v134, v153, v152, s53                           // 000000006D3C: D1ED0086 00D73199
	v_perm_b32 v134, v154, v134, s54                           // 000000006D44: D1ED0086 00DB0D9A
	v_perm_b32 v134, v155, v134, s55                           // 000000006D4C: D1ED0086 00DF0D9B
	v_mul_f32_e32 v156, v23, v156                              // 000000006D54: 0B393917
	v_mul_f32_e32 v157, v23, v157                              // 000000006D58: 0B3B3B17
	v_mul_f32_e32 v158, v23, v158                              // 000000006D5C: 0B3D3D17
	v_mul_f32_e32 v159, v23, v159                              // 000000006D60: 0B3F3F17
	v_cvt_i32_f32_e32 v156, v156                               // 000000006D64: 7F38119C
	v_cvt_i32_f32_e32 v157, v157                               // 000000006D68: 7F3A119D
	v_cvt_i32_f32_e32 v158, v158                               // 000000006D6C: 7F3C119E
	v_cvt_i32_f32_e32 v159, v159                               // 000000006D70: 7F3E119F
	v_perm_b32 v135, v157, v156, s53                           // 000000006D74: D1ED0087 00D7399D
	v_perm_b32 v135, v158, v135, s54                           // 000000006D7C: D1ED0087 00DB0F9E
	v_perm_b32 v135, v159, v135, s55                           // 000000006D84: D1ED0087 00DF0F9F
	v_mul_f32_e32 v160, v22, v160                              // 000000006D8C: 0B414116
	v_mul_f32_e32 v161, v22, v161                              // 000000006D90: 0B434316
	v_mul_f32_e32 v162, v22, v162                              // 000000006D94: 0B454516
	v_mul_f32_e32 v163, v22, v163                              // 000000006D98: 0B474716
	v_cvt_i32_f32_e32 v160, v160                               // 000000006D9C: 7F4011A0
	v_cvt_i32_f32_e32 v161, v161                               // 000000006DA0: 7F4211A1
	v_cvt_i32_f32_e32 v162, v162                               // 000000006DA4: 7F4411A2
	v_cvt_i32_f32_e32 v163, v163                               // 000000006DA8: 7F4611A3
	v_perm_b32 v136, v161, v160, s53                           // 000000006DAC: D1ED0088 00D741A1
	v_perm_b32 v136, v162, v136, s54                           // 000000006DB4: D1ED0088 00DB11A2
	v_perm_b32 v136, v163, v136, s55                           // 000000006DBC: D1ED0088 00DF11A3
	v_mul_f32_e32 v164, v23, v164                              // 000000006DC4: 0B494917
	v_mul_f32_e32 v165, v23, v165                              // 000000006DC8: 0B4B4B17
	v_mul_f32_e32 v166, v23, v166                              // 000000006DCC: 0B4D4D17
	v_mul_f32_e32 v167, v23, v167                              // 000000006DD0: 0B4F4F17
	v_cvt_i32_f32_e32 v164, v164                               // 000000006DD4: 7F4811A4
	v_cvt_i32_f32_e32 v165, v165                               // 000000006DD8: 7F4A11A5
	v_cvt_i32_f32_e32 v166, v166                               // 000000006DDC: 7F4C11A6
	v_cvt_i32_f32_e32 v167, v167                               // 000000006DE0: 7F4E11A7
	v_perm_b32 v137, v165, v164, s53                           // 000000006DE4: D1ED0089 00D749A5
	v_perm_b32 v137, v166, v137, s54                           // 000000006DEC: D1ED0089 00DB13A6
	v_perm_b32 v137, v167, v137, s55                           // 000000006DF4: D1ED0089 00DF13A7
	v_rcp_f32_e32 v24, v22                                     // 000000006DFC: 7E304516
	v_rcp_f32_e32 v25, v23                                     // 000000006E00: 7E324517
	v_lshrrev_b32_e32 v42, 5, v0                               // 000000006E04: 20540085
	v_lshlrev_b32_e32 v43, 5, v42                              // 000000006E08: 24565485
	v_and_b32_e32 v42, 31, v0                                  // 000000006E0C: 2654009F
	v_lshrrev_b32_e32 v44, 4, v42                              // 000000006E10: 20585484
	v_add_u32_e32 v43, v44, v43                                // 000000006E14: 6856572C
	v_and_b32_e32 v42, 15, v0                                  // 000000006E18: 2654008F
	v_lshlrev_b32_e32 v42, 1, v42                              // 000000006E1C: 24545481
	v_add_u32_e32 v43, v42, v43                                // 000000006E20: 6856572A
	v_lshlrev_b32_e32 v42, 2, v43                              // 000000006E24: 24545682
	s_mul_i32 s60, 0x100, s5                                   // 000000006E28: 923C05FF 00000100
	v_add_u32_e64 v42, v42, s60                                // 000000006E30: D134002A 0000792A
	ds_write_b32 v42, v128 offset:2048                         // 000000006E38: D81A0800 0000802A
	ds_write_b32 v42, v129 offset:7168                         // 000000006E40: D81A1C00 0000812A
	ds_write_b32 v42, v130 offset:3072                         // 000000006E48: D81A0C00 0000822A
	ds_write_b32 v42, v131 offset:8192                         // 000000006E50: D81A2000 0000832A
	ds_write_b32 v42, v132 offset:4096                         // 000000006E58: D81A1000 0000842A
	ds_write_b32 v42, v133 offset:9216                         // 000000006E60: D81A2400 0000852A
	ds_write_b32 v42, v134 offset:5120                         // 000000006E68: D81A1400 0000862A
	ds_write_b32 v42, v135 offset:10240                        // 000000006E70: D81A2800 0000872A
	ds_write_b32 v42, v136 offset:6144                         // 000000006E78: D81A1800 0000882A
	ds_write_b32 v42, v137 offset:11264                        // 000000006E80: D81A2C00 0000892A
	s_waitcnt lgkmcnt(0)                                       // 000000006E88: BF8CC07F
	s_barrier                                                  // 000000006E8C: BF8A0000
	v_lshrrev_b32_e32 v42, 4, v0                               // 000000006E90: 20540084
	v_lshlrev_b32_e32 v43, 6, v42                              // 000000006E94: 24565486
	v_and_b32_e32 v42, 15, v0                                  // 000000006E98: 2654008F
	v_lshlrev_b32_e32 v42, 1, v42                              // 000000006E9C: 24545481
	v_add_u32_e32 v43, v42, v43                                // 000000006EA0: 6856572A
	v_lshlrev_b32_e32 v42, 2, v43                              // 000000006EA4: 24545682
	ds_read_b64 v[128:129], v42 offset:2048                    // 000000006EA8: D8EC0800 8000002A
	ds_read_b64 v[130:131], v42 offset:2176                    // 000000006EB0: D8EC0880 8200002A
	ds_read_b64 v[132:133], v42 offset:3072                    // 000000006EB8: D8EC0C00 8400002A
	ds_read_b64 v[134:135], v42 offset:3200                    // 000000006EC0: D8EC0C80 8600002A
	ds_read_b64 v[136:137], v42 offset:4096                    // 000000006EC8: D8EC1000 8800002A
	ds_read_b64 v[138:139], v42 offset:4224                    // 000000006ED0: D8EC1080 8A00002A
	ds_read_b64 v[140:141], v42 offset:5120                    // 000000006ED8: D8EC1400 8C00002A
	ds_read_b64 v[142:143], v42 offset:5248                    // 000000006EE0: D8EC1480 8E00002A
	ds_read_b64 v[144:145], v42 offset:6144                    // 000000006EE8: D8EC1800 9000002A
	ds_read_b64 v[146:147], v42 offset:6272                    // 000000006EF0: D8EC1880 9200002A
	ds_read_b64 v[148:149], v42 offset:7168                    // 000000006EF8: D8EC1C00 9400002A
	ds_read_b64 v[150:151], v42 offset:7296                    // 000000006F00: D8EC1C80 9600002A
	ds_read_b64 v[152:153], v42 offset:8192                    // 000000006F08: D8EC2000 9800002A
	ds_read_b64 v[154:155], v42 offset:8320                    // 000000006F10: D8EC2080 9A00002A
	ds_read_b64 v[156:157], v42 offset:9216                    // 000000006F18: D8EC2400 9C00002A
	ds_read_b64 v[158:159], v42 offset:9344                    // 000000006F20: D8EC2480 9E00002A
	ds_read_b64 v[160:161], v42 offset:10240                   // 000000006F28: D8EC2800 A000002A
	ds_read_b64 v[162:163], v42 offset:10368                   // 000000006F30: D8EC2880 A200002A
	ds_read_b64 v[164:165], v42 offset:11264                   // 000000006F38: D8EC2C00 A400002A
	ds_read_b64 v[166:167], v42 offset:11392                   // 000000006F40: D8EC2C80 A600002A
	s_add_u32 s12, s56, s12                                    // 000000006F48: 800C0C38
	s_addc_u32 s13, 0, s13                                     // 000000006F4C: 820D0D80
	s_add_u32 s16, s79, s16                                    // 000000006F50: 8010104F
	s_addc_u32 s17, 0, s17                                     // 000000006F54: 82111180
	s_waitcnt lgkmcnt(0)                                       // 000000006F58: BF8CC07F
	s_barrier                                                  // 000000006F5C: BF8A0000
	v_mov_b32_e32 v168, 0                                      // 000000006F60: 7F500280
	v_mov_b32_e32 v200, 0                                      // 000000006F64: 7F900280
	v_mov_b32_e32 v169, 0                                      // 000000006F68: 7F520280
	v_mov_b32_e32 v201, 0                                      // 000000006F6C: 7F920280
	v_mov_b32_e32 v170, 0                                      // 000000006F70: 7F540280
	v_mov_b32_e32 v202, 0                                      // 000000006F74: 7F940280
	v_mov_b32_e32 v171, 0                                      // 000000006F78: 7F560280
	v_mov_b32_e32 v203, 0                                      // 000000006F7C: 7F960280
	v_mov_b32_e32 v172, 0                                      // 000000006F80: 7F580280
	v_mov_b32_e32 v204, 0                                      // 000000006F84: 7F980280
	v_mov_b32_e32 v173, 0                                      // 000000006F88: 7F5A0280
	v_mov_b32_e32 v205, 0                                      // 000000006F8C: 7F9A0280
	v_mov_b32_e32 v174, 0                                      // 000000006F90: 7F5C0280
	v_mov_b32_e32 v206, 0                                      // 000000006F94: 7F9C0280
	v_mov_b32_e32 v175, 0                                      // 000000006F98: 7F5E0280
	v_mov_b32_e32 v207, 0                                      // 000000006F9C: 7F9E0280
	v_mov_b32_e32 v176, 0                                      // 000000006FA0: 7F600280
	v_mov_b32_e32 v208, 0                                      // 000000006FA4: 7FA00280
	v_mov_b32_e32 v177, 0                                      // 000000006FA8: 7F620280
	v_mov_b32_e32 v209, 0                                      // 000000006FAC: 7FA20280
	v_mov_b32_e32 v178, 0                                      // 000000006FB0: 7F640280
	v_mov_b32_e32 v210, 0                                      // 000000006FB4: 7FA40280
	v_mov_b32_e32 v179, 0                                      // 000000006FB8: 7F660280
	v_mov_b32_e32 v211, 0                                      // 000000006FBC: 7FA60280
	v_mov_b32_e32 v180, 0                                      // 000000006FC0: 7F680280
	v_mov_b32_e32 v212, 0                                      // 000000006FC4: 7FA80280
	v_mov_b32_e32 v181, 0                                      // 000000006FC8: 7F6A0280
	v_mov_b32_e32 v213, 0                                      // 000000006FCC: 7FAA0280
	v_mov_b32_e32 v182, 0                                      // 000000006FD0: 7F6C0280
	v_mov_b32_e32 v214, 0                                      // 000000006FD4: 7FAC0280
	v_mov_b32_e32 v183, 0                                      // 000000006FD8: 7F6E0280
	v_mov_b32_e32 v215, 0                                      // 000000006FDC: 7FAE0280
	ds_write_b64 v3, v[168:169] offset:2048                    // 000000006FE0: D89A0800 0000A803
	ds_write_b64 v3, v[170:171] offset:10752                   // 000000006FE8: D89A2A00 0000AA03
	ds_write_b64 v3, v[172:173] offset:4224                    // 000000006FF0: D89A1080 0000AC03
	ds_write_b64 v3, v[174:175] offset:12928                   // 000000006FF8: D89A3280 0000AE03
	ds_write_b64 v3, v[176:177] offset:6400                    // 000000007000: D89A1900 0000B003
	ds_write_b64 v3, v[178:179] offset:15104                   // 000000007008: D89A3B00 0000B203
	ds_write_b64 v3, v[180:181] offset:8576                    // 000000007010: D89A2180 0000B403
	ds_write_b64 v3, v[182:183] offset:17280                   // 000000007018: D89A4380 0000B603
	s_mov_b32 s80, 0                                           // 000000007020: BED00080
	s_waitcnt vmcnt(0) expcnt(0) lgkmcnt(0)                    // 000000007024: BF8C0000

0000000000007028 <label_108A>:
	s_waitcnt vmcnt(33) lgkmcnt(0)                             // 000000007028: BF8C8071
	s_barrier                                                  // 00000000702C: BF8A0000
	v_mfma_i32_16x16x32_i8 v[168:171], a[0:1], v[128:129], 0   // 000000007030: D3D700A8 0A030100
	ds_read_b32 v64, v4 offset:2048                            // 000000007038: D86C0800 40000004
	ds_read_b32 v65, v4 offset:6400                            // 000000007040: D86C1900 41000004
	v_mfma_i32_16x16x32_i8 v[168:171], a[2:3], v[130:131], v[168:171]// 000000007048: D3D700A8 0EA30502
	buffer_load_dwordx4 a[80:83], v46, s[12:15], 0 offen       // 000000007050: E05C1000 8083502E
	v_mfma_i32_16x16x32_i8 v[172:175], a[0:1], v[148:149], 0   // 000000007058: D3D700AC 0A032900
	ds_read_b32 v66, v4 offset:2080                            // 000000007060: D86C0820 42000004
	ds_read_b32 v67, v4 offset:6432                            // 000000007068: D86C1920 43000004
	v_mfma_i32_16x16x32_i8 v[172:175], a[2:3], v[150:151], v[172:175]// 000000007070: D3D700AC 0EB32D02
	v_mfma_i32_16x16x32_i8 v[176:179], a[4:5], v[128:129], 0   // 000000007078: D3D700B0 0A030104
	ds_read_b32 v68, v4 offset:2112                            // 000000007080: D86C0840 44000004
	ds_read_b32 v69, v4 offset:6464                            // 000000007088: D86C1940 45000004
	v_mfma_i32_16x16x32_i8 v[176:179], a[6:7], v[130:131], v[176:179]// 000000007090: D3D700B0 0EC30506
	buffer_load_dwordx4 a[84:87], v47, s[12:15], 0 offen       // 000000007098: E05C1000 8083542F
	v_mfma_i32_16x16x32_i8 v[180:183], a[4:5], v[148:149], 0   // 0000000070A0: D3D700B4 0A032904
	ds_read_b32 v70, v4 offset:2144                            // 0000000070A8: D86C0860 46000004
	ds_read_b32 v71, v4 offset:6496                            // 0000000070B0: D86C1960 47000004
	v_mfma_i32_16x16x32_i8 v[180:183], a[6:7], v[150:151], v[180:183]// 0000000070B8: D3D700B4 0ED32D06
	v_mfma_i32_16x16x32_i8 v[184:187], a[8:9], v[128:129], 0   // 0000000070C0: D3D700B8 0A030108
	ds_read_b32 v72, v4 offset:10752                           // 0000000070C8: D86C2A00 48000004
	ds_read_b32 v73, v4 offset:15104                           // 0000000070D0: D86C3B00 49000004
	v_mfma_i32_16x16x32_i8 v[184:187], a[10:11], v[130:131], v[184:187]// 0000000070D8: D3D700B8 0EE3050A
	buffer_load_dwordx4 a[88:91], v48, s[12:15], 0 offen       // 0000000070E0: E05C1000 80835830
	v_mfma_i32_16x16x32_i8 v[188:191], a[8:9], v[148:149], 0   // 0000000070E8: D3D700BC 0A032908
	ds_read_b32 v74, v4 offset:10784                           // 0000000070F0: D86C2A20 4A000004
	ds_read_b32 v75, v4 offset:15136                           // 0000000070F8: D86C3B20 4B000004
	v_mfma_i32_16x16x32_i8 v[188:191], a[10:11], v[150:151], v[188:191]// 000000007100: D3D700BC 0EF32D0A
	v_mfma_i32_16x16x32_i8 v[192:195], a[12:13], v[128:129], 0 // 000000007108: D3D700C0 0A03010C
	ds_read_b32 v76, v4 offset:10816                           // 000000007110: D86C2A40 4C000004
	ds_read_b32 v77, v4 offset:15168                           // 000000007118: D86C3B40 4D000004
	v_mfma_i32_16x16x32_i8 v[192:195], a[14:15], v[130:131], v[192:195]// 000000007120: D3D700C0 0F03050E
	buffer_load_dwordx4 a[92:95], v49, s[12:15], 0 offen       // 000000007128: E05C1000 80835C31
	s_add_u32 s12, s78, s12                                    // 000000007130: 800C0C4E
	s_addc_u32 s13, 0, s13                                     // 000000007134: 820D0D80
	v_mfma_i32_16x16x32_i8 v[196:199], a[12:13], v[148:149], 0 // 000000007138: D3D700C4 0A03290C
	ds_read_b32 v78, v4 offset:10848                           // 000000007140: D86C2A60 4E000004
	ds_read_b32 v79, v4 offset:15200                           // 000000007148: D86C3B60 4F000004
	v_mfma_i32_16x16x32_i8 v[196:199], a[14:15], v[150:151], v[196:199]// 000000007150: D3D700C4 0F132D0E
	s_waitcnt vmcnt(33)                                        // 000000007158: BF8C8F71
	v_mfma_i32_16x16x32_i8 v[168:171], a[16:17], v[132:133], v[168:171]// 00000000715C: D3D700A8 0EA30910
	v_mfma_i32_16x16x32_i8 v[168:171], a[18:19], v[134:135], v[168:171]// 000000007164: D3D700A8 0EA30D12
	buffer_load_dwordx4 a[96:99], v46, s[12:15], 0 offen       // 00000000716C: E05C1000 8083602E
	v_mfma_i32_16x16x32_i8 v[172:175], a[16:17], v[152:153], v[172:175]// 000000007174: D3D700AC 0EB33110
	v_mfma_i32_16x16x32_i8 v[172:175], a[18:19], v[154:155], v[172:175]// 00000000717C: D3D700AC 0EB33512
	v_mfma_i32_16x16x32_i8 v[176:179], a[20:21], v[132:133], v[176:179]// 000000007184: D3D700B0 0EC30914
	v_mfma_i32_16x16x32_i8 v[176:179], a[22:23], v[134:135], v[176:179]// 00000000718C: D3D700B0 0EC30D16
	buffer_load_dwordx4 a[100:103], v47, s[12:15], 0 offen     // 000000007194: E05C1000 8083642F
	v_mfma_i32_16x16x32_i8 v[180:183], a[20:21], v[152:153], v[180:183]// 00000000719C: D3D700B4 0ED33114
	v_mfma_i32_16x16x32_i8 v[180:183], a[22:23], v[154:155], v[180:183]// 0000000071A4: D3D700B4 0ED33516
	v_mfma_i32_16x16x32_i8 v[184:187], a[24:25], v[132:133], v[184:187]// 0000000071AC: D3D700B8 0EE30918
	v_mfma_i32_16x16x32_i8 v[184:187], a[26:27], v[134:135], v[184:187]// 0000000071B4: D3D700B8 0EE30D1A
	buffer_load_dwordx4 a[104:107], v48, s[12:15], 0 offen     // 0000000071BC: E05C1000 80836830
	v_mfma_i32_16x16x32_i8 v[188:191], a[24:25], v[152:153], v[188:191]// 0000000071C4: D3D700BC 0EF33118
	v_mfma_i32_16x16x32_i8 v[188:191], a[26:27], v[154:155], v[188:191]// 0000000071CC: D3D700BC 0EF3351A
	v_mfma_i32_16x16x32_i8 v[192:195], a[28:29], v[132:133], v[192:195]// 0000000071D4: D3D700C0 0F03091C
	v_mfma_i32_16x16x32_i8 v[192:195], a[30:31], v[134:135], v[192:195]// 0000000071DC: D3D700C0 0F030D1E
	buffer_load_dwordx4 a[108:111], v49, s[12:15], 0 offen     // 0000000071E4: E05C1000 80836C31
	s_add_u32 s12, s78, s12                                    // 0000000071EC: 800C0C4E
	s_addc_u32 s13, 0, s13                                     // 0000000071F0: 820D0D80
	v_mfma_i32_16x16x32_i8 v[196:199], a[28:29], v[152:153], v[196:199]// 0000000071F4: D3D700C4 0F13311C
	v_mfma_i32_16x16x32_i8 v[196:199], a[30:31], v[154:155], v[196:199]// 0000000071FC: D3D700C4 0F13351E
	s_waitcnt vmcnt(33)                                        // 000000007204: BF8C8F71
	v_mfma_i32_16x16x32_i8 v[168:171], a[32:33], v[136:137], v[168:171]// 000000007208: D3D700A8 0EA31120
	ds_write_b64 v3, v[200:201] offset:19456                   // 000000007210: D89A4C00 0000C803
	v_mfma_i32_16x16x32_i8 v[168:171], a[34:35], v[138:139], v[168:171]// 000000007218: D3D700A8 0EA31522
	buffer_load_dwordx4 a[112:115], v46, s[12:15], 0 offen     // 000000007220: E05C1000 8083702E
	v_mfma_i32_16x16x32_i8 v[172:175], a[32:33], v[156:157], v[172:175]// 000000007228: D3D700AC 0EB33920
	ds_write_b64 v3, v[202:203] offset:28160                   // 000000007230: D89A6E00 0000CA03
	v_mfma_i32_16x16x32_i8 v[172:175], a[34:35], v[158:159], v[172:175]// 000000007238: D3D700AC 0EB33D22
	v_mfma_i32_16x16x32_i8 v[176:179], a[36:37], v[136:137], v[176:179]// 000000007240: D3D700B0 0EC31124
	ds_write_b64 v3, v[204:205] offset:21632                   // 000000007248: D89A5480 0000CC03
	v_mfma_i32_16x16x32_i8 v[176:179], a[38:39], v[138:139], v[176:179]// 000000007250: D3D700B0 0EC31526
	buffer_load_dwordx4 a[116:119], v47, s[12:15], 0 offen     // 000000007258: E05C1000 8083742F
	v_mfma_i32_16x16x32_i8 v[180:183], a[36:37], v[156:157], v[180:183]// 000000007260: D3D700B4 0ED33924
	ds_write_b64 v3, v[206:207] offset:30336                   // 000000007268: D89A7680 0000CE03
	v_mfma_i32_16x16x32_i8 v[180:183], a[38:39], v[158:159], v[180:183]// 000000007270: D3D700B4 0ED33D26
	v_mfma_i32_16x16x32_i8 v[184:187], a[40:41], v[136:137], v[184:187]// 000000007278: D3D700B8 0EE31128
	ds_write_b64 v3, v[208:209] offset:23808                   // 000000007280: D89A5D00 0000D003
	v_mfma_i32_16x16x32_i8 v[184:187], a[42:43], v[138:139], v[184:187]// 000000007288: D3D700B8 0EE3152A
	buffer_load_dwordx4 a[120:123], v48, s[12:15], 0 offen     // 000000007290: E05C1000 80837830
	v_mfma_i32_16x16x32_i8 v[188:191], a[40:41], v[156:157], v[188:191]// 000000007298: D3D700BC 0EF33928
	ds_write_b64 v3, v[210:211] offset:32512                   // 0000000072A0: D89A7F00 0000D203
	v_mfma_i32_16x16x32_i8 v[188:191], a[42:43], v[158:159], v[188:191]// 0000000072A8: D3D700BC 0EF33D2A
	v_mfma_i32_16x16x32_i8 v[192:195], a[44:45], v[136:137], v[192:195]// 0000000072B0: D3D700C0 0F03112C
	ds_write_b64 v3, v[212:213] offset:25984                   // 0000000072B8: D89A6580 0000D403
	v_mfma_i32_16x16x32_i8 v[192:195], a[46:47], v[138:139], v[192:195]// 0000000072C0: D3D700C0 0F03152E
	buffer_load_dwordx4 a[124:127], v49, s[12:15], 0 offen     // 0000000072C8: E05C1000 80837C31
	s_add_u32 s12, s78, s12                                    // 0000000072D0: 800C0C4E
	s_addc_u32 s13, 0, s13                                     // 0000000072D4: 820D0D80
	v_mfma_i32_16x16x32_i8 v[196:199], a[44:45], v[156:157], v[196:199]// 0000000072D8: D3D700C4 0F13392C
	ds_write_b64 v3, v[214:215] offset:34688                   // 0000000072E0: D89A8780 0000D603
	v_mfma_i32_16x16x32_i8 v[196:199], a[46:47], v[158:159], v[196:199]// 0000000072E8: D3D700C4 0F133D2E
	s_waitcnt vmcnt(33)                                        // 0000000072F0: BF8C8F71
	v_mfma_i32_16x16x32_i8 v[168:171], a[48:49], v[140:141], v[168:171]// 0000000072F4: D3D700A8 0EA31930
	v_mfma_i32_16x16x32_i8 v[168:171], a[50:51], v[142:143], v[168:171]// 0000000072FC: D3D700A8 0EA31D32
	buffer_load_dwordx4 a[128:131], v46, s[12:15], 0 offen     // 000000007304: E05C1000 8083802E
	v_mfma_i32_16x16x32_i8 v[172:175], a[48:49], v[160:161], v[172:175]// 00000000730C: D3D700AC 0EB34130
	v_mfma_i32_16x16x32_i8 v[172:175], a[50:51], v[162:163], v[172:175]// 000000007314: D3D700AC 0EB34532
	v_mfma_i32_16x16x32_i8 v[176:179], a[52:53], v[140:141], v[176:179]// 00000000731C: D3D700B0 0EC31934
	v_mfma_i32_16x16x32_i8 v[176:179], a[54:55], v[142:143], v[176:179]// 000000007324: D3D700B0 0EC31D36
	buffer_load_dwordx4 a[132:135], v47, s[12:15], 0 offen     // 00000000732C: E05C1000 8083842F
	v_mfma_i32_16x16x32_i8 v[180:183], a[52:53], v[160:161], v[180:183]// 000000007334: D3D700B4 0ED34134
	v_mfma_i32_16x16x32_i8 v[180:183], a[54:55], v[162:163], v[180:183]// 00000000733C: D3D700B4 0ED34536
	v_mfma_i32_16x16x32_i8 v[184:187], a[56:57], v[140:141], v[184:187]// 000000007344: D3D700B8 0EE31938
	v_mfma_i32_16x16x32_i8 v[184:187], a[58:59], v[142:143], v[184:187]// 00000000734C: D3D700B8 0EE31D3A
	buffer_load_dwordx4 a[136:139], v48, s[12:15], 0 offen     // 000000007354: E05C1000 80838830
	v_mfma_i32_16x16x32_i8 v[188:191], a[56:57], v[160:161], v[188:191]// 00000000735C: D3D700BC 0EF34138
	v_mfma_i32_16x16x32_i8 v[188:191], a[58:59], v[162:163], v[188:191]// 000000007364: D3D700BC 0EF3453A
	v_mfma_i32_16x16x32_i8 v[192:195], a[60:61], v[140:141], v[192:195]// 00000000736C: D3D700C0 0F03193C
	v_mfma_i32_16x16x32_i8 v[192:195], a[62:63], v[142:143], v[192:195]// 000000007374: D3D700C0 0F031D3E
	buffer_load_dwordx4 a[140:143], v49, s[12:15], 0 offen     // 00000000737C: E05C1000 80838C31
	s_add_u32 s12, s78, s12                                    // 000000007384: 800C0C4E
	s_addc_u32 s13, 0, s13                                     // 000000007388: 820D0D80
	v_mfma_i32_16x16x32_i8 v[196:199], a[60:61], v[160:161], v[196:199]// 00000000738C: D3D700C4 0F13413C
	v_mfma_i32_16x16x32_i8 v[196:199], a[62:63], v[162:163], v[196:199]// 000000007394: D3D700C4 0F13453E
	s_waitcnt vmcnt(32)                                        // 00000000739C: BF8C8F70
	v_mfma_i32_16x16x32_i8 v[168:171], a[64:65], v[144:145], v[168:171]// 0000000073A0: D3D700A8 0EA32140
	v_mfma_i32_16x16x32_i8 v[168:171], a[66:67], v[146:147], v[168:171]// 0000000073A8: D3D700A8 0EA32542
	buffer_load_dwordx4 a[144:147], v46, s[12:15], 0 offen     // 0000000073B0: E05C1000 8083902E
	v_mfma_i32_16x16x32_i8 v[172:175], a[64:65], v[164:165], v[172:175]// 0000000073B8: D3D700AC 0EB34940
	v_mfma_i32_16x16x32_i8 v[172:175], a[66:67], v[166:167], v[172:175]// 0000000073C0: D3D700AC 0EB34D42
	buffer_load_dword v13, v5, s[16:19], 0 offen               // 0000000073C8: E0501000 80040D05
	v_mfma_i32_16x16x32_i8 v[176:179], a[68:69], v[144:145], v[176:179]// 0000000073D0: D3D700B0 0EC32144
	v_mfma_i32_16x16x32_i8 v[176:179], a[70:71], v[146:147], v[176:179]// 0000000073D8: D3D700B0 0EC32546
	buffer_load_dwordx4 a[148:151], v47, s[12:15], 0 offen     // 0000000073E0: E05C1000 8083942F
	v_mfma_i32_16x16x32_i8 v[180:183], a[68:69], v[164:165], v[180:183]// 0000000073E8: D3D700B4 0ED34944
	v_mfma_i32_16x16x32_i8 v[180:183], a[70:71], v[166:167], v[180:183]// 0000000073F0: D3D700B4 0ED34D46
	v_mfma_i32_16x16x32_i8 v[184:187], a[72:73], v[144:145], v[184:187]// 0000000073F8: D3D700B8 0EE32148
	v_mfma_i32_16x16x32_i8 v[184:187], a[74:75], v[146:147], v[184:187]// 000000007400: D3D700B8 0EE3254A
	buffer_load_dwordx4 a[152:155], v48, s[12:15], 0 offen     // 000000007408: E05C1000 80839830
	v_mfma_i32_16x16x32_i8 v[188:191], a[72:73], v[164:165], v[188:191]// 000000007410: D3D700BC 0EF34948
	v_mfma_i32_16x16x32_i8 v[188:191], a[74:75], v[166:167], v[188:191]// 000000007418: D3D700BC 0EF34D4A
	v_mfma_i32_16x16x32_i8 v[192:195], a[76:77], v[144:145], v[192:195]// 000000007420: D3D700C0 0F03214C
	v_mfma_i32_16x16x32_i8 v[192:195], a[78:79], v[146:147], v[192:195]// 000000007428: D3D700C0 0F03254E
	buffer_load_dwordx4 a[156:159], v49, s[12:15], 0 offen     // 000000007430: E05C1000 80839C31
	v_mfma_i32_16x16x32_i8 v[196:199], a[76:77], v[164:165], v[196:199]// 000000007438: D3D700C4 0F13494C
	v_mfma_i32_16x16x32_i8 v[196:199], a[78:79], v[166:167], v[196:199]// 000000007440: D3D700C4 0F134D4E
	s_add_u32 s60, 0x200, s80                                  // 000000007448: 803C50FF 00000200
	s_cmp_lt_u32 s60, s81                                      // 000000007450: BF0A513C
	s_cselect_b32 s56, s56, 0                                  // 000000007454: 85388038
	s_cselect_b32 s78, s78, 0                                  // 000000007458: 854E804E
	s_cselect_b32 s79, s79, 0                                  // 00000000745C: 854F804F
	s_add_u32 s12, s56, s12                                    // 000000007460: 800C0C38
	s_addc_u32 s13, 0, s13                                     // 000000007464: 820D0D80
	s_add_u32 s16, s79, s16                                    // 000000007468: 8010104F
	s_addc_u32 s17, 0, s17                                     // 00000000746C: 82111180
	v_mov_b32_e32 v42, v24                                     // 000000007470: 7E540318
	v_mov_b32_e32 v44, v20                                     // 000000007474: 7E580314
	v_mov_b32_e32 v43, v42                                     // 000000007478: 7E56032A
	v_mov_b32_e32 v45, v44                                     // 00000000747C: 7E5A032C
	v_cvt_f32_i32_e32 v168, v168                               // 000000007480: 7F500BA8
	v_cvt_f32_i32_e32 v169, v169                               // 000000007484: 7F520BA9
	v_cvt_f32_i32_e32 v170, v170                               // 000000007488: 7F540BAA
	v_cvt_f32_i32_e32 v171, v171                               // 00000000748C: 7F560BAB
	v_pk_mul_f32 v[168:169], v[42:43], v[168:169]              // 000000007490: D3B140A8 1803512A
	v_pk_mul_f32 v[170:171], v[42:43], v[170:171]              // 000000007498: D3B140AA 1803552A
	v_mul_f32_dpp v168, v12, v168 row_newbcast:0 row_mask:0xf bank_mask:0xf// 0000000074A0: 0B5150FA FF01500C
	v_mul_f32_dpp v169, v12, v169 row_newbcast:1 row_mask:0xf bank_mask:0xf// 0000000074A8: 0B5352FA FF01510C
	v_mul_f32_dpp v170, v12, v170 row_newbcast:2 row_mask:0xf bank_mask:0xf// 0000000074B0: 0B5554FA FF01520C
	v_mul_f32_dpp v171, v12, v171 row_newbcast:3 row_mask:0xf bank_mask:0xf// 0000000074B8: 0B5756FA FF01530C
	v_pk_mul_f32 v[168:169], v[44:45], v[168:169]              // 0000000074C0: D3B140A8 1803512C
	v_pk_mul_f32 v[170:171], v[44:45], v[170:171]              // 0000000074C8: D3B140AA 1803552C
	v_cvt_f32_i32_e32 v176, v176                               // 0000000074D0: 7F600BB0
	v_cvt_f32_i32_e32 v177, v177                               // 0000000074D4: 7F620BB1
	v_cvt_f32_i32_e32 v178, v178                               // 0000000074D8: 7F640BB2
	v_cvt_f32_i32_e32 v179, v179                               // 0000000074DC: 7F660BB3
	v_pk_mul_f32 v[176:177], v[42:43], v[176:177]              // 0000000074E0: D3B140B0 1803612A
	v_pk_mul_f32 v[178:179], v[42:43], v[178:179]              // 0000000074E8: D3B140B2 1803652A
	v_mul_f32_dpp v176, v12, v176 row_newbcast:4 row_mask:0xf bank_mask:0xf// 0000000074F0: 0B6160FA FF01540C
	v_mul_f32_dpp v177, v12, v177 row_newbcast:5 row_mask:0xf bank_mask:0xf// 0000000074F8: 0B6362FA FF01550C
	v_mul_f32_dpp v178, v12, v178 row_newbcast:6 row_mask:0xf bank_mask:0xf// 000000007500: 0B6564FA FF01560C
	v_mul_f32_dpp v179, v12, v179 row_newbcast:7 row_mask:0xf bank_mask:0xf// 000000007508: 0B6766FA FF01570C
	v_pk_mul_f32 v[176:177], v[44:45], v[176:177]              // 000000007510: D3B140B0 1803612C
	v_pk_mul_f32 v[178:179], v[44:45], v[178:179]              // 000000007518: D3B140B2 1803652C
	v_cvt_f32_i32_e32 v184, v184                               // 000000007520: 7F700BB8
	v_cvt_f32_i32_e32 v185, v185                               // 000000007524: 7F720BB9
	v_cvt_f32_i32_e32 v186, v186                               // 000000007528: 7F740BBA
	v_cvt_f32_i32_e32 v187, v187                               // 00000000752C: 7F760BBB
	v_pk_mul_f32 v[184:185], v[42:43], v[184:185]              // 000000007530: D3B140B8 1803712A
	v_pk_mul_f32 v[186:187], v[42:43], v[186:187]              // 000000007538: D3B140BA 1803752A
	v_mul_f32_dpp v184, v12, v184 row_newbcast:8 row_mask:0xf bank_mask:0xf// 000000007540: 0B7170FA FF01580C
	v_mul_f32_dpp v185, v12, v185 row_newbcast:9 row_mask:0xf bank_mask:0xf// 000000007548: 0B7372FA FF01590C
	v_mul_f32_dpp v186, v12, v186 row_newbcast:10 row_mask:0xf bank_mask:0xf// 000000007550: 0B7574FA FF015A0C
	v_mul_f32_dpp v187, v12, v187 row_newbcast:11 row_mask:0xf bank_mask:0xf// 000000007558: 0B7776FA FF015B0C
	v_pk_mul_f32 v[184:185], v[44:45], v[184:185]              // 000000007560: D3B140B8 1803712C
	v_pk_mul_f32 v[186:187], v[44:45], v[186:187]              // 000000007568: D3B140BA 1803752C
	v_cvt_f32_i32_e32 v192, v192                               // 000000007570: 7F800BC0
	v_cvt_f32_i32_e32 v193, v193                               // 000000007574: 7F820BC1
	v_cvt_f32_i32_e32 v194, v194                               // 000000007578: 7F840BC2
	v_cvt_f32_i32_e32 v195, v195                               // 00000000757C: 7F860BC3
	v_pk_mul_f32 v[192:193], v[42:43], v[192:193]              // 000000007580: D3B140C0 1803812A
	v_pk_mul_f32 v[194:195], v[42:43], v[194:195]              // 000000007588: D3B140C2 1803852A
	v_mul_f32_dpp v192, v12, v192 row_newbcast:12 row_mask:0xf bank_mask:0xf// 000000007590: 0B8180FA FF015C0C
	v_mul_f32_dpp v193, v12, v193 row_newbcast:13 row_mask:0xf bank_mask:0xf// 000000007598: 0B8382FA FF015D0C
	v_mul_f32_dpp v194, v12, v194 row_newbcast:14 row_mask:0xf bank_mask:0xf// 0000000075A0: 0B8584FA FF015E0C
	v_mul_f32_dpp v195, v12, v195 row_newbcast:15 row_mask:0xf bank_mask:0xf// 0000000075A8: 0B8786FA FF015F0C
	v_pk_mul_f32 v[192:193], v[44:45], v[192:193]              // 0000000075B0: D3B140C0 1803812C
	v_pk_mul_f32 v[194:195], v[44:45], v[194:195]              // 0000000075B8: D3B140C2 1803852C
	v_mov_b32_e32 v42, v25                                     // 0000000075C0: 7E540319
	v_mov_b32_e32 v44, v21                                     // 0000000075C4: 7E580315
	v_mov_b32_e32 v43, v42                                     // 0000000075C8: 7E56032A
	v_mov_b32_e32 v45, v44                                     // 0000000075CC: 7E5A032C
	v_cvt_f32_i32_e32 v172, v172                               // 0000000075D0: 7F580BAC
	v_cvt_f32_i32_e32 v173, v173                               // 0000000075D4: 7F5A0BAD
	v_cvt_f32_i32_e32 v174, v174                               // 0000000075D8: 7F5C0BAE
	v_cvt_f32_i32_e32 v175, v175                               // 0000000075DC: 7F5E0BAF
	v_pk_mul_f32 v[172:173], v[42:43], v[172:173]              // 0000000075E0: D3B140AC 1803592A
	v_pk_mul_f32 v[174:175], v[42:43], v[174:175]              // 0000000075E8: D3B140AE 18035D2A
	v_mul_f32_dpp v172, v12, v172 row_newbcast:0 row_mask:0xf bank_mask:0xf// 0000000075F0: 0B5958FA FF01500C
	v_mul_f32_dpp v173, v12, v173 row_newbcast:1 row_mask:0xf bank_mask:0xf// 0000000075F8: 0B5B5AFA FF01510C
	v_mul_f32_dpp v174, v12, v174 row_newbcast:2 row_mask:0xf bank_mask:0xf// 000000007600: 0B5D5CFA FF01520C
	v_mul_f32_dpp v175, v12, v175 row_newbcast:3 row_mask:0xf bank_mask:0xf// 000000007608: 0B5F5EFA FF01530C
	v_pk_mul_f32 v[172:173], v[44:45], v[172:173]              // 000000007610: D3B140AC 1803592C
	v_pk_mul_f32 v[174:175], v[44:45], v[174:175]              // 000000007618: D3B140AE 18035D2C
	v_cvt_f32_i32_e32 v180, v180                               // 000000007620: 7F680BB4
	v_cvt_f32_i32_e32 v181, v181                               // 000000007624: 7F6A0BB5
	v_cvt_f32_i32_e32 v182, v182                               // 000000007628: 7F6C0BB6
	v_cvt_f32_i32_e32 v183, v183                               // 00000000762C: 7F6E0BB7
	v_pk_mul_f32 v[180:181], v[42:43], v[180:181]              // 000000007630: D3B140B4 1803692A
	v_pk_mul_f32 v[182:183], v[42:43], v[182:183]              // 000000007638: D3B140B6 18036D2A
	v_mul_f32_dpp v180, v12, v180 row_newbcast:4 row_mask:0xf bank_mask:0xf// 000000007640: 0B6968FA FF01540C
	v_mul_f32_dpp v181, v12, v181 row_newbcast:5 row_mask:0xf bank_mask:0xf// 000000007648: 0B6B6AFA FF01550C
	v_mul_f32_dpp v182, v12, v182 row_newbcast:6 row_mask:0xf bank_mask:0xf// 000000007650: 0B6D6CFA FF01560C
	v_mul_f32_dpp v183, v12, v183 row_newbcast:7 row_mask:0xf bank_mask:0xf// 000000007658: 0B6F6EFA FF01570C
	v_pk_mul_f32 v[180:181], v[44:45], v[180:181]              // 000000007660: D3B140B4 1803692C
	v_pk_mul_f32 v[182:183], v[44:45], v[182:183]              // 000000007668: D3B140B6 18036D2C
	v_cvt_f32_i32_e32 v188, v188                               // 000000007670: 7F780BBC
	v_cvt_f32_i32_e32 v189, v189                               // 000000007674: 7F7A0BBD
	v_cvt_f32_i32_e32 v190, v190                               // 000000007678: 7F7C0BBE
	v_cvt_f32_i32_e32 v191, v191                               // 00000000767C: 7F7E0BBF
	v_pk_mul_f32 v[188:189], v[42:43], v[188:189]              // 000000007680: D3B140BC 1803792A
	v_pk_mul_f32 v[190:191], v[42:43], v[190:191]              // 000000007688: D3B140BE 18037D2A
	v_mul_f32_dpp v188, v12, v188 row_newbcast:8 row_mask:0xf bank_mask:0xf// 000000007690: 0B7978FA FF01580C
	v_mul_f32_dpp v189, v12, v189 row_newbcast:9 row_mask:0xf bank_mask:0xf// 000000007698: 0B7B7AFA FF01590C
	v_mul_f32_dpp v190, v12, v190 row_newbcast:10 row_mask:0xf bank_mask:0xf// 0000000076A0: 0B7D7CFA FF015A0C
	v_mul_f32_dpp v191, v12, v191 row_newbcast:11 row_mask:0xf bank_mask:0xf// 0000000076A8: 0B7F7EFA FF015B0C
	v_pk_mul_f32 v[188:189], v[44:45], v[188:189]              // 0000000076B0: D3B140BC 1803792C
	v_pk_mul_f32 v[190:191], v[44:45], v[190:191]              // 0000000076B8: D3B140BE 18037D2C
	v_cvt_f32_i32_e32 v196, v196                               // 0000000076C0: 7F880BC4
	v_cvt_f32_i32_e32 v197, v197                               // 0000000076C4: 7F8A0BC5
	v_cvt_f32_i32_e32 v198, v198                               // 0000000076C8: 7F8C0BC6
	v_cvt_f32_i32_e32 v199, v199                               // 0000000076CC: 7F8E0BC7
	v_pk_mul_f32 v[196:197], v[42:43], v[196:197]              // 0000000076D0: D3B140C4 1803892A
	v_pk_mul_f32 v[198:199], v[42:43], v[198:199]              // 0000000076D8: D3B140C6 18038D2A
	v_mul_f32_dpp v196, v12, v196 row_newbcast:12 row_mask:0xf bank_mask:0xf// 0000000076E0: 0B8988FA FF015C0C
	v_mul_f32_dpp v197, v12, v197 row_newbcast:13 row_mask:0xf bank_mask:0xf// 0000000076E8: 0B8B8AFA FF015D0C
	v_mul_f32_dpp v198, v12, v198 row_newbcast:14 row_mask:0xf bank_mask:0xf// 0000000076F0: 0B8D8CFA FF015E0C
	v_mul_f32_dpp v199, v12, v199 row_newbcast:15 row_mask:0xf bank_mask:0xf// 0000000076F8: 0B8F8EFA FF015F0C
	v_pk_mul_f32 v[196:197], v[44:45], v[196:197]              // 000000007700: D3B140C4 1803892C
	v_pk_mul_f32 v[198:199], v[44:45], v[198:199]              // 000000007708: D3B140C6 18038D2C
	v_cvt_pkrtz_f16_f32 v168, v168, v169                       // 000000007710: D29600A8 000353A8
	v_cvt_pkrtz_f16_f32 v169, v170, v171                       // 000000007718: D29600A9 000357AA
	v_cvt_pkrtz_f16_f32 v170, v172, v173                       // 000000007720: D29600AA 00035BAC
	v_cvt_pkrtz_f16_f32 v171, v174, v175                       // 000000007728: D29600AB 00035FAE
	v_cvt_pkrtz_f16_f32 v172, v176, v177                       // 000000007730: D29600AC 000363B0
	v_cvt_pkrtz_f16_f32 v173, v178, v179                       // 000000007738: D29600AD 000367B2
	v_cvt_pkrtz_f16_f32 v174, v180, v181                       // 000000007740: D29600AE 00036BB4
	v_cvt_pkrtz_f16_f32 v175, v182, v183                       // 000000007748: D29600AF 00036FB6
	v_cvt_pkrtz_f16_f32 v176, v184, v185                       // 000000007750: D29600B0 000373B8
	v_cvt_pkrtz_f16_f32 v177, v186, v187                       // 000000007758: D29600B1 000377BA
	v_cvt_pkrtz_f16_f32 v178, v188, v189                       // 000000007760: D29600B2 00037BBC
	v_cvt_pkrtz_f16_f32 v179, v190, v191                       // 000000007768: D29600B3 00037FBE
	v_cvt_pkrtz_f16_f32 v180, v192, v193                       // 000000007770: D29600B4 000383C0
	v_cvt_pkrtz_f16_f32 v181, v194, v195                       // 000000007778: D29600B5 000387C2
	v_cvt_pkrtz_f16_f32 v182, v196, v197                       // 000000007780: D29600B6 00038BC4
	v_cvt_pkrtz_f16_f32 v183, v198, v199                       // 000000007788: D29600B7 00038FC6
	s_cmp_ge_u32 s80, 0x200                                    // 000000007790: BF09FF50 00000200
	s_cselect_b32 s59, 0x200, s59                              // 000000007798: 853B3BFF 00000200
	s_mov_b64 exec, s[20:21]                                   // 0000000077A0: BEFE0114
	global_atomic_pk_add_f16 v80, v64, s[8:9]                  // 0000000077A4: DD388000 00084050
	s_mov_b64 exec, s[36:37]                                   // 0000000077AC: BEFE0124
	s_mov_b64 exec, s[20:21]                                   // 0000000077B0: BEFE0114
	global_atomic_pk_add_f16 v80, v65, s[8:9] offset:256       // 0000000077B4: DD388100 00084150
	s_mov_b64 exec, s[36:37]                                   // 0000000077BC: BEFE0124
	s_mov_b64 exec, s[22:23]                                   // 0000000077C0: BEFE0116
	global_atomic_pk_add_f16 v82, v66, s[8:9]                  // 0000000077C4: DD388000 00084252
	s_mov_b64 exec, s[36:37]                                   // 0000000077CC: BEFE0124
	s_mov_b64 exec, s[22:23]                                   // 0000000077D0: BEFE0116
	global_atomic_pk_add_f16 v82, v67, s[8:9] offset:256       // 0000000077D4: DD388100 00084352
	s_mov_b64 exec, s[36:37]                                   // 0000000077DC: BEFE0124
	s_mov_b64 exec, s[24:25]                                   // 0000000077E0: BEFE0118
	global_atomic_pk_add_f16 v84, v68, s[8:9]                  // 0000000077E4: DD388000 00084454
	s_mov_b64 exec, s[36:37]                                   // 0000000077EC: BEFE0124
	s_mov_b64 exec, s[24:25]                                   // 0000000077F0: BEFE0118
	global_atomic_pk_add_f16 v84, v69, s[8:9] offset:256       // 0000000077F4: DD388100 00084554
	s_mov_b64 exec, s[36:37]                                   // 0000000077FC: BEFE0124
	s_mov_b64 exec, s[26:27]                                   // 000000007800: BEFE011A
	global_atomic_pk_add_f16 v86, v70, s[8:9]                  // 000000007804: DD388000 00084656
	s_mov_b64 exec, s[36:37]                                   // 00000000780C: BEFE0124
	s_mov_b64 exec, s[26:27]                                   // 000000007810: BEFE011A
	global_atomic_pk_add_f16 v86, v71, s[8:9] offset:256       // 000000007814: DD388100 00084756
	s_mov_b64 exec, s[36:37]                                   // 00000000781C: BEFE0124
	s_mov_b64 exec, s[28:29]                                   // 000000007820: BEFE011C
	global_atomic_pk_add_f16 v88, v72, s[8:9]                  // 000000007824: DD388000 00084858
	s_mov_b64 exec, s[36:37]                                   // 00000000782C: BEFE0124
	s_mov_b64 exec, s[28:29]                                   // 000000007830: BEFE011C
	global_atomic_pk_add_f16 v88, v73, s[8:9] offset:256       // 000000007834: DD388100 00084958
	s_mov_b64 exec, s[36:37]                                   // 00000000783C: BEFE0124
	s_mov_b64 exec, s[30:31]                                   // 000000007840: BEFE011E
	global_atomic_pk_add_f16 v90, v74, s[8:9]                  // 000000007844: DD388000 00084A5A
	s_mov_b64 exec, s[36:37]                                   // 00000000784C: BEFE0124
	s_mov_b64 exec, s[30:31]                                   // 000000007850: BEFE011E
	global_atomic_pk_add_f16 v90, v75, s[8:9] offset:256       // 000000007854: DD388100 00084B5A
	s_mov_b64 exec, s[36:37]                                   // 00000000785C: BEFE0124
	s_mov_b64 exec, s[32:33]                                   // 000000007860: BEFE0120
	global_atomic_pk_add_f16 v92, v76, s[8:9]                  // 000000007864: DD388000 00084C5C
	s_mov_b64 exec, s[36:37]                                   // 00000000786C: BEFE0124
	s_mov_b64 exec, s[32:33]                                   // 000000007870: BEFE0120
	global_atomic_pk_add_f16 v92, v77, s[8:9] offset:256       // 000000007874: DD388100 00084D5C
	s_mov_b64 exec, s[36:37]                                   // 00000000787C: BEFE0124
	s_mov_b64 exec, s[34:35]                                   // 000000007880: BEFE0122
	global_atomic_pk_add_f16 v94, v78, s[8:9]                  // 000000007884: DD388000 00084E5E
	s_mov_b64 exec, s[36:37]                                   // 00000000788C: BEFE0124
	s_mov_b64 exec, s[34:35]                                   // 000000007890: BEFE0122
	global_atomic_pk_add_f16 v94, v79, s[8:9] offset:256       // 000000007894: DD388100 00084F5E
	s_mov_b64 exec, s[36:37]                                   // 00000000789C: BEFE0124
	s_add_u32 s8, s59, s8                                      // 0000000078A0: 8008083B
	s_addc_u32 s9, 0, s9                                       // 0000000078A4: 82090980
	s_addk_i32 s80, 0x100                                      // 0000000078A8: B7500100
	s_cmp_lt_i32 s80, s81                                      // 0000000078AC: BF045150
	s_cbranch_scc0 label_14D1                                  // 0000000078B0: BF840224
	s_waitcnt vmcnt(33) lgkmcnt(0)                             // 0000000078B4: BF8C8071
	s_barrier                                                  // 0000000078B8: BF8A0000
	v_mfma_i32_16x16x32_i8 v[200:203], a[80:81], v[128:129], 0 // 0000000078BC: D3D700C8 0A030150
	ds_read_b32 v64, v4 offset:19456                           // 0000000078C4: D86C4C00 40000004
	ds_read_b32 v65, v4 offset:23808                           // 0000000078CC: D86C5D00 41000004
	v_mfma_i32_16x16x32_i8 v[200:203], a[82:83], v[130:131], v[200:203]// 0000000078D4: D3D700C8 0F230552
	buffer_load_dwordx4 a[0:3], v46, s[12:15], 0 offen         // 0000000078DC: E05C1000 8083002E
	v_mfma_i32_16x16x32_i8 v[204:207], a[80:81], v[148:149], 0 // 0000000078E4: D3D700CC 0A032950
	ds_read_b32 v66, v4 offset:19488                           // 0000000078EC: D86C4C20 42000004
	ds_read_b32 v67, v4 offset:23840                           // 0000000078F4: D86C5D20 43000004
	v_mfma_i32_16x16x32_i8 v[204:207], a[82:83], v[150:151], v[204:207]// 0000000078FC: D3D700CC 0F332D52
	v_mfma_i32_16x16x32_i8 v[208:211], a[84:85], v[128:129], 0 // 000000007904: D3D700D0 0A030154
	ds_read_b32 v68, v4 offset:19520                           // 00000000790C: D86C4C40 44000004
	ds_read_b32 v69, v4 offset:23872                           // 000000007914: D86C5D40 45000004
	v_mfma_i32_16x16x32_i8 v[208:211], a[86:87], v[130:131], v[208:211]// 00000000791C: D3D700D0 0F430556
	buffer_load_dwordx4 a[4:7], v47, s[12:15], 0 offen         // 000000007924: E05C1000 8083042F
	v_mfma_i32_16x16x32_i8 v[212:215], a[84:85], v[148:149], 0 // 00000000792C: D3D700D4 0A032954
	ds_read_b32 v70, v4 offset:19552                           // 000000007934: D86C4C60 46000004
	ds_read_b32 v71, v4 offset:23904                           // 00000000793C: D86C5D60 47000004
	v_mfma_i32_16x16x32_i8 v[212:215], a[86:87], v[150:151], v[212:215]// 000000007944: D3D700D4 0F532D56
	v_mfma_i32_16x16x32_i8 v[216:219], a[88:89], v[128:129], 0 // 00000000794C: D3D700D8 0A030158
	ds_read_b32 v72, v4 offset:28160                           // 000000007954: D86C6E00 48000004
	ds_read_b32 v73, v4 offset:32512                           // 00000000795C: D86C7F00 49000004
	v_mfma_i32_16x16x32_i8 v[216:219], a[90:91], v[130:131], v[216:219]// 000000007964: D3D700D8 0F63055A
	buffer_load_dwordx4 a[8:11], v48, s[12:15], 0 offen        // 00000000796C: E05C1000 80830830
	v_mfma_i32_16x16x32_i8 v[220:223], a[88:89], v[148:149], 0 // 000000007974: D3D700DC 0A032958
	ds_read_b32 v74, v4 offset:28192                           // 00000000797C: D86C6E20 4A000004
	ds_read_b32 v75, v4 offset:32544                           // 000000007984: D86C7F20 4B000004
	v_mfma_i32_16x16x32_i8 v[220:223], a[90:91], v[150:151], v[220:223]// 00000000798C: D3D700DC 0F732D5A
	v_mfma_i32_16x16x32_i8 v[224:227], a[92:93], v[128:129], 0 // 000000007994: D3D700E0 0A03015C
	ds_read_b32 v76, v4 offset:28224                           // 00000000799C: D86C6E40 4C000004
	ds_read_b32 v77, v4 offset:32576                           // 0000000079A4: D86C7F40 4D000004
	v_mfma_i32_16x16x32_i8 v[224:227], a[94:95], v[130:131], v[224:227]// 0000000079AC: D3D700E0 0F83055E
	buffer_load_dwordx4 a[12:15], v49, s[12:15], 0 offen       // 0000000079B4: E05C1000 80830C31
	s_add_u32 s12, s78, s12                                    // 0000000079BC: 800C0C4E
	s_addc_u32 s13, 0, s13                                     // 0000000079C0: 820D0D80
	v_mfma_i32_16x16x32_i8 v[228:231], a[92:93], v[148:149], 0 // 0000000079C4: D3D700E4 0A03295C
	ds_read_b32 v78, v4 offset:28256                           // 0000000079CC: D86C6E60 4E000004
	ds_read_b32 v79, v4 offset:32608                           // 0000000079D4: D86C7F60 4F000004
	v_mfma_i32_16x16x32_i8 v[228:231], a[94:95], v[150:151], v[228:231]// 0000000079DC: D3D700E4 0F932D5E
	s_waitcnt vmcnt(33)                                        // 0000000079E4: BF8C8F71
	v_mfma_i32_16x16x32_i8 v[200:203], a[96:97], v[132:133], v[200:203]// 0000000079E8: D3D700C8 0F230960
	v_mfma_i32_16x16x32_i8 v[200:203], a[98:99], v[134:135], v[200:203]// 0000000079F0: D3D700C8 0F230D62
	buffer_load_dwordx4 a[16:19], v46, s[12:15], 0 offen       // 0000000079F8: E05C1000 8083102E
	v_mfma_i32_16x16x32_i8 v[204:207], a[96:97], v[152:153], v[204:207]// 000000007A00: D3D700CC 0F333160
	v_mfma_i32_16x16x32_i8 v[204:207], a[98:99], v[154:155], v[204:207]// 000000007A08: D3D700CC 0F333562
	v_mfma_i32_16x16x32_i8 v[208:211], a[100:101], v[132:133], v[208:211]// 000000007A10: D3D700D0 0F430964
	v_mfma_i32_16x16x32_i8 v[208:211], a[102:103], v[134:135], v[208:211]// 000000007A18: D3D700D0 0F430D66
	buffer_load_dwordx4 a[20:23], v47, s[12:15], 0 offen       // 000000007A20: E05C1000 8083142F
	v_mfma_i32_16x16x32_i8 v[212:215], a[100:101], v[152:153], v[212:215]// 000000007A28: D3D700D4 0F533164
	v_mfma_i32_16x16x32_i8 v[212:215], a[102:103], v[154:155], v[212:215]// 000000007A30: D3D700D4 0F533566
	v_mfma_i32_16x16x32_i8 v[216:219], a[104:105], v[132:133], v[216:219]// 000000007A38: D3D700D8 0F630968
	v_mfma_i32_16x16x32_i8 v[216:219], a[106:107], v[134:135], v[216:219]// 000000007A40: D3D700D8 0F630D6A
	buffer_load_dwordx4 a[24:27], v48, s[12:15], 0 offen       // 000000007A48: E05C1000 80831830
	v_mfma_i32_16x16x32_i8 v[220:223], a[104:105], v[152:153], v[220:223]// 000000007A50: D3D700DC 0F733168
	v_mfma_i32_16x16x32_i8 v[220:223], a[106:107], v[154:155], v[220:223]// 000000007A58: D3D700DC 0F73356A
	v_mfma_i32_16x16x32_i8 v[224:227], a[108:109], v[132:133], v[224:227]// 000000007A60: D3D700E0 0F83096C
	v_mfma_i32_16x16x32_i8 v[224:227], a[110:111], v[134:135], v[224:227]// 000000007A68: D3D700E0 0F830D6E
	buffer_load_dwordx4 a[28:31], v49, s[12:15], 0 offen       // 000000007A70: E05C1000 80831C31
	s_add_u32 s12, s78, s12                                    // 000000007A78: 800C0C4E
	s_addc_u32 s13, 0, s13                                     // 000000007A7C: 820D0D80
	v_mfma_i32_16x16x32_i8 v[228:231], a[108:109], v[152:153], v[228:231]// 000000007A80: D3D700E4 0F93316C
	v_mfma_i32_16x16x32_i8 v[228:231], a[110:111], v[154:155], v[228:231]// 000000007A88: D3D700E4 0F93356E
	s_waitcnt vmcnt(33)                                        // 000000007A90: BF8C8F71
	v_mfma_i32_16x16x32_i8 v[200:203], a[112:113], v[136:137], v[200:203]// 000000007A94: D3D700C8 0F231170
	ds_write_b64 v3, v[168:169] offset:2048                    // 000000007A9C: D89A0800 0000A803
	v_mfma_i32_16x16x32_i8 v[200:203], a[114:115], v[138:139], v[200:203]// 000000007AA4: D3D700C8 0F231572
	buffer_load_dwordx4 a[32:35], v46, s[12:15], 0 offen       // 000000007AAC: E05C1000 8083202E
	v_mfma_i32_16x16x32_i8 v[204:207], a[112:113], v[156:157], v[204:207]// 000000007AB4: D3D700CC 0F333970
	ds_write_b64 v3, v[170:171] offset:10752                   // 000000007ABC: D89A2A00 0000AA03
	v_mfma_i32_16x16x32_i8 v[204:207], a[114:115], v[158:159], v[204:207]// 000000007AC4: D3D700CC 0F333D72
	v_mfma_i32_16x16x32_i8 v[208:211], a[116:117], v[136:137], v[208:211]// 000000007ACC: D3D700D0 0F431174
	ds_write_b64 v3, v[172:173] offset:4224                    // 000000007AD4: D89A1080 0000AC03
	v_mfma_i32_16x16x32_i8 v[208:211], a[118:119], v[138:139], v[208:211]// 000000007ADC: D3D700D0 0F431576
	buffer_load_dwordx4 a[36:39], v47, s[12:15], 0 offen       // 000000007AE4: E05C1000 8083242F
	v_mfma_i32_16x16x32_i8 v[212:215], a[116:117], v[156:157], v[212:215]// 000000007AEC: D3D700D4 0F533974
	ds_write_b64 v3, v[174:175] offset:12928                   // 000000007AF4: D89A3280 0000AE03
	v_mfma_i32_16x16x32_i8 v[212:215], a[118:119], v[158:159], v[212:215]// 000000007AFC: D3D700D4 0F533D76
	v_mfma_i32_16x16x32_i8 v[216:219], a[120:121], v[136:137], v[216:219]// 000000007B04: D3D700D8 0F631178
	ds_write_b64 v3, v[176:177] offset:6400                    // 000000007B0C: D89A1900 0000B003
	v_mfma_i32_16x16x32_i8 v[216:219], a[122:123], v[138:139], v[216:219]// 000000007B14: D3D700D8 0F63157A
	buffer_load_dwordx4 a[40:43], v48, s[12:15], 0 offen       // 000000007B1C: E05C1000 80832830
	v_mfma_i32_16x16x32_i8 v[220:223], a[120:121], v[156:157], v[220:223]// 000000007B24: D3D700DC 0F733978
	ds_write_b64 v3, v[178:179] offset:15104                   // 000000007B2C: D89A3B00 0000B203
	v_mfma_i32_16x16x32_i8 v[220:223], a[122:123], v[158:159], v[220:223]// 000000007B34: D3D700DC 0F733D7A
	v_mfma_i32_16x16x32_i8 v[224:227], a[124:125], v[136:137], v[224:227]// 000000007B3C: D3D700E0 0F83117C
	ds_write_b64 v3, v[180:181] offset:8576                    // 000000007B44: D89A2180 0000B403
	v_mfma_i32_16x16x32_i8 v[224:227], a[126:127], v[138:139], v[224:227]// 000000007B4C: D3D700E0 0F83157E
	buffer_load_dwordx4 a[44:47], v49, s[12:15], 0 offen       // 000000007B54: E05C1000 80832C31
	s_add_u32 s12, s78, s12                                    // 000000007B5C: 800C0C4E
	s_addc_u32 s13, 0, s13                                     // 000000007B60: 820D0D80
	v_mfma_i32_16x16x32_i8 v[228:231], a[124:125], v[156:157], v[228:231]// 000000007B64: D3D700E4 0F93397C
	ds_write_b64 v3, v[182:183] offset:17280                   // 000000007B6C: D89A4380 0000B603
	v_mfma_i32_16x16x32_i8 v[228:231], a[126:127], v[158:159], v[228:231]// 000000007B74: D3D700E4 0F933D7E
	s_waitcnt vmcnt(33)                                        // 000000007B7C: BF8C8F71
	v_mfma_i32_16x16x32_i8 v[200:203], a[128:129], v[140:141], v[200:203]// 000000007B80: D3D700C8 0F231980
	v_mfma_i32_16x16x32_i8 v[200:203], a[130:131], v[142:143], v[200:203]// 000000007B88: D3D700C8 0F231D82
	buffer_load_dwordx4 a[48:51], v46, s[12:15], 0 offen       // 000000007B90: E05C1000 8083302E
	v_mfma_i32_16x16x32_i8 v[204:207], a[128:129], v[160:161], v[204:207]// 000000007B98: D3D700CC 0F334180
	v_mfma_i32_16x16x32_i8 v[204:207], a[130:131], v[162:163], v[204:207]// 000000007BA0: D3D700CC 0F334582
	v_mfma_i32_16x16x32_i8 v[208:211], a[132:133], v[140:141], v[208:211]// 000000007BA8: D3D700D0 0F431984
	v_mfma_i32_16x16x32_i8 v[208:211], a[134:135], v[142:143], v[208:211]// 000000007BB0: D3D700D0 0F431D86
	buffer_load_dwordx4 a[52:55], v47, s[12:15], 0 offen       // 000000007BB8: E05C1000 8083342F
	v_mfma_i32_16x16x32_i8 v[212:215], a[132:133], v[160:161], v[212:215]// 000000007BC0: D3D700D4 0F534184
	v_mfma_i32_16x16x32_i8 v[212:215], a[134:135], v[162:163], v[212:215]// 000000007BC8: D3D700D4 0F534586
	v_mfma_i32_16x16x32_i8 v[216:219], a[136:137], v[140:141], v[216:219]// 000000007BD0: D3D700D8 0F631988
	v_mfma_i32_16x16x32_i8 v[216:219], a[138:139], v[142:143], v[216:219]// 000000007BD8: D3D700D8 0F631D8A
	buffer_load_dwordx4 a[56:59], v48, s[12:15], 0 offen       // 000000007BE0: E05C1000 80833830
	v_mfma_i32_16x16x32_i8 v[220:223], a[136:137], v[160:161], v[220:223]// 000000007BE8: D3D700DC 0F734188
	v_mfma_i32_16x16x32_i8 v[220:223], a[138:139], v[162:163], v[220:223]// 000000007BF0: D3D700DC 0F73458A
	v_mfma_i32_16x16x32_i8 v[224:227], a[140:141], v[140:141], v[224:227]// 000000007BF8: D3D700E0 0F83198C
	v_mfma_i32_16x16x32_i8 v[224:227], a[142:143], v[142:143], v[224:227]// 000000007C00: D3D700E0 0F831D8E
	buffer_load_dwordx4 a[60:63], v49, s[12:15], 0 offen       // 000000007C08: E05C1000 80833C31
	s_add_u32 s12, s78, s12                                    // 000000007C10: 800C0C4E
	s_addc_u32 s13, 0, s13                                     // 000000007C14: 820D0D80
	v_mfma_i32_16x16x32_i8 v[228:231], a[140:141], v[160:161], v[228:231]// 000000007C18: D3D700E4 0F93418C
	v_mfma_i32_16x16x32_i8 v[228:231], a[142:143], v[162:163], v[228:231]// 000000007C20: D3D700E4 0F93458E
	s_waitcnt vmcnt(32)                                        // 000000007C28: BF8C8F70
	v_mfma_i32_16x16x32_i8 v[200:203], a[144:145], v[144:145], v[200:203]// 000000007C2C: D3D700C8 0F232190
	v_mfma_i32_16x16x32_i8 v[200:203], a[146:147], v[146:147], v[200:203]// 000000007C34: D3D700C8 0F232592
	buffer_load_dwordx4 a[64:67], v46, s[12:15], 0 offen       // 000000007C3C: E05C1000 8083402E
	v_mfma_i32_16x16x32_i8 v[204:207], a[144:145], v[164:165], v[204:207]// 000000007C44: D3D700CC 0F334990
	v_mfma_i32_16x16x32_i8 v[204:207], a[146:147], v[166:167], v[204:207]// 000000007C4C: D3D700CC 0F334D92
	buffer_load_dword v12, v5, s[16:19], 0 offen               // 000000007C54: E0501000 80040C05
	v_mfma_i32_16x16x32_i8 v[208:211], a[148:149], v[144:145], v[208:211]// 000000007C5C: D3D700D0 0F432194
	v_mfma_i32_16x16x32_i8 v[208:211], a[150:151], v[146:147], v[208:211]// 000000007C64: D3D700D0 0F432596
	buffer_load_dwordx4 a[68:71], v47, s[12:15], 0 offen       // 000000007C6C: E05C1000 8083442F
	v_mfma_i32_16x16x32_i8 v[212:215], a[148:149], v[164:165], v[212:215]// 000000007C74: D3D700D4 0F534994
	v_mfma_i32_16x16x32_i8 v[212:215], a[150:151], v[166:167], v[212:215]// 000000007C7C: D3D700D4 0F534D96
	v_mfma_i32_16x16x32_i8 v[216:219], a[152:153], v[144:145], v[216:219]// 000000007C84: D3D700D8 0F632198
	v_mfma_i32_16x16x32_i8 v[216:219], a[154:155], v[146:147], v[216:219]// 000000007C8C: D3D700D8 0F63259A
	buffer_load_dwordx4 a[72:75], v48, s[12:15], 0 offen       // 000000007C94: E05C1000 80834830
	v_mfma_i32_16x16x32_i8 v[220:223], a[152:153], v[164:165], v[220:223]// 000000007C9C: D3D700DC 0F734998
	v_mfma_i32_16x16x32_i8 v[220:223], a[154:155], v[166:167], v[220:223]// 000000007CA4: D3D700DC 0F734D9A
	v_mfma_i32_16x16x32_i8 v[224:227], a[156:157], v[144:145], v[224:227]// 000000007CAC: D3D700E0 0F83219C
	v_mfma_i32_16x16x32_i8 v[224:227], a[158:159], v[146:147], v[224:227]// 000000007CB4: D3D700E0 0F83259E
	buffer_load_dwordx4 a[76:79], v49, s[12:15], 0 offen       // 000000007CBC: E05C1000 80834C31
	v_mfma_i32_16x16x32_i8 v[228:231], a[156:157], v[164:165], v[228:231]// 000000007CC4: D3D700E4 0F93499C
	v_mfma_i32_16x16x32_i8 v[228:231], a[158:159], v[166:167], v[228:231]// 000000007CCC: D3D700E4 0F934D9E
	s_add_u32 s60, 0x200, s80                                  // 000000007CD4: 803C50FF 00000200
	s_cmp_lt_u32 s60, s81                                      // 000000007CDC: BF0A513C
	s_cselect_b32 s56, s56, 0                                  // 000000007CE0: 85388038
	s_cselect_b32 s78, s78, 0                                  // 000000007CE4: 854E804E
	s_cselect_b32 s79, s79, 0                                  // 000000007CE8: 854F804F
	s_add_u32 s12, s56, s12                                    // 000000007CEC: 800C0C38
	s_addc_u32 s13, 0, s13                                     // 000000007CF0: 820D0D80
	s_add_u32 s16, s79, s16                                    // 000000007CF4: 8010104F
	s_addc_u32 s17, 0, s17                                     // 000000007CF8: 82111180
	v_mov_b32_e32 v42, v24                                     // 000000007CFC: 7E540318
	v_mov_b32_e32 v44, v20                                     // 000000007D00: 7E580314
	v_mov_b32_e32 v43, v42                                     // 000000007D04: 7E56032A
	v_mov_b32_e32 v45, v44                                     // 000000007D08: 7E5A032C
	v_cvt_f32_i32_e32 v200, v200                               // 000000007D0C: 7F900BC8
	v_cvt_f32_i32_e32 v201, v201                               // 000000007D10: 7F920BC9
	v_cvt_f32_i32_e32 v202, v202                               // 000000007D14: 7F940BCA
	v_cvt_f32_i32_e32 v203, v203                               // 000000007D18: 7F960BCB
	v_pk_mul_f32 v[200:201], v[42:43], v[200:201]              // 000000007D1C: D3B140C8 1803912A
	v_pk_mul_f32 v[202:203], v[42:43], v[202:203]              // 000000007D24: D3B140CA 1803952A
	v_mul_f32_dpp v200, v13, v200 row_newbcast:0 row_mask:0xf bank_mask:0xf// 000000007D2C: 0B9190FA FF01500D
	v_mul_f32_dpp v201, v13, v201 row_newbcast:1 row_mask:0xf bank_mask:0xf// 000000007D34: 0B9392FA FF01510D
	v_mul_f32_dpp v202, v13, v202 row_newbcast:2 row_mask:0xf bank_mask:0xf// 000000007D3C: 0B9594FA FF01520D
	v_mul_f32_dpp v203, v13, v203 row_newbcast:3 row_mask:0xf bank_mask:0xf// 000000007D44: 0B9796FA FF01530D
	v_pk_mul_f32 v[200:201], v[44:45], v[200:201]              // 000000007D4C: D3B140C8 1803912C
	v_pk_mul_f32 v[202:203], v[44:45], v[202:203]              // 000000007D54: D3B140CA 1803952C
	v_cvt_f32_i32_e32 v208, v208                               // 000000007D5C: 7FA00BD0
	v_cvt_f32_i32_e32 v209, v209                               // 000000007D60: 7FA20BD1
	v_cvt_f32_i32_e32 v210, v210                               // 000000007D64: 7FA40BD2
	v_cvt_f32_i32_e32 v211, v211                               // 000000007D68: 7FA60BD3
	v_pk_mul_f32 v[208:209], v[42:43], v[208:209]              // 000000007D6C: D3B140D0 1803A12A
	v_pk_mul_f32 v[210:211], v[42:43], v[210:211]              // 000000007D74: D3B140D2 1803A52A
	v_mul_f32_dpp v208, v13, v208 row_newbcast:4 row_mask:0xf bank_mask:0xf// 000000007D7C: 0BA1A0FA FF01540D
	v_mul_f32_dpp v209, v13, v209 row_newbcast:5 row_mask:0xf bank_mask:0xf// 000000007D84: 0BA3A2FA FF01550D
	v_mul_f32_dpp v210, v13, v210 row_newbcast:6 row_mask:0xf bank_mask:0xf// 000000007D8C: 0BA5A4FA FF01560D
	v_mul_f32_dpp v211, v13, v211 row_newbcast:7 row_mask:0xf bank_mask:0xf// 000000007D94: 0BA7A6FA FF01570D
	v_pk_mul_f32 v[208:209], v[44:45], v[208:209]              // 000000007D9C: D3B140D0 1803A12C
	v_pk_mul_f32 v[210:211], v[44:45], v[210:211]              // 000000007DA4: D3B140D2 1803A52C
	v_cvt_f32_i32_e32 v216, v216                               // 000000007DAC: 7FB00BD8
	v_cvt_f32_i32_e32 v217, v217                               // 000000007DB0: 7FB20BD9
	v_cvt_f32_i32_e32 v218, v218                               // 000000007DB4: 7FB40BDA
	v_cvt_f32_i32_e32 v219, v219                               // 000000007DB8: 7FB60BDB
	v_pk_mul_f32 v[216:217], v[42:43], v[216:217]              // 000000007DBC: D3B140D8 1803B12A
	v_pk_mul_f32 v[218:219], v[42:43], v[218:219]              // 000000007DC4: D3B140DA 1803B52A
	v_mul_f32_dpp v216, v13, v216 row_newbcast:8 row_mask:0xf bank_mask:0xf// 000000007DCC: 0BB1B0FA FF01580D
	v_mul_f32_dpp v217, v13, v217 row_newbcast:9 row_mask:0xf bank_mask:0xf// 000000007DD4: 0BB3B2FA FF01590D
	v_mul_f32_dpp v218, v13, v218 row_newbcast:10 row_mask:0xf bank_mask:0xf// 000000007DDC: 0BB5B4FA FF015A0D
	v_mul_f32_dpp v219, v13, v219 row_newbcast:11 row_mask:0xf bank_mask:0xf// 000000007DE4: 0BB7B6FA FF015B0D
	v_pk_mul_f32 v[216:217], v[44:45], v[216:217]              // 000000007DEC: D3B140D8 1803B12C
	v_pk_mul_f32 v[218:219], v[44:45], v[218:219]              // 000000007DF4: D3B140DA 1803B52C
	v_cvt_f32_i32_e32 v224, v224                               // 000000007DFC: 7FC00BE0
	v_cvt_f32_i32_e32 v225, v225                               // 000000007E00: 7FC20BE1
	v_cvt_f32_i32_e32 v226, v226                               // 000000007E04: 7FC40BE2
	v_cvt_f32_i32_e32 v227, v227                               // 000000007E08: 7FC60BE3
	v_pk_mul_f32 v[224:225], v[42:43], v[224:225]              // 000000007E0C: D3B140E0 1803C12A
	v_pk_mul_f32 v[226:227], v[42:43], v[226:227]              // 000000007E14: D3B140E2 1803C52A
	v_mul_f32_dpp v224, v13, v224 row_newbcast:12 row_mask:0xf bank_mask:0xf// 000000007E1C: 0BC1C0FA FF015C0D
	v_mul_f32_dpp v225, v13, v225 row_newbcast:13 row_mask:0xf bank_mask:0xf// 000000007E24: 0BC3C2FA FF015D0D
	v_mul_f32_dpp v226, v13, v226 row_newbcast:14 row_mask:0xf bank_mask:0xf// 000000007E2C: 0BC5C4FA FF015E0D
	v_mul_f32_dpp v227, v13, v227 row_newbcast:15 row_mask:0xf bank_mask:0xf// 000000007E34: 0BC7C6FA FF015F0D
	v_pk_mul_f32 v[224:225], v[44:45], v[224:225]              // 000000007E3C: D3B140E0 1803C12C
	v_pk_mul_f32 v[226:227], v[44:45], v[226:227]              // 000000007E44: D3B140E2 1803C52C
	v_mov_b32_e32 v42, v25                                     // 000000007E4C: 7E540319
	v_mov_b32_e32 v44, v21                                     // 000000007E50: 7E580315
	v_mov_b32_e32 v43, v42                                     // 000000007E54: 7E56032A
	v_mov_b32_e32 v45, v44                                     // 000000007E58: 7E5A032C
	v_cvt_f32_i32_e32 v204, v204                               // 000000007E5C: 7F980BCC
	v_cvt_f32_i32_e32 v205, v205                               // 000000007E60: 7F9A0BCD
	v_cvt_f32_i32_e32 v206, v206                               // 000000007E64: 7F9C0BCE
	v_cvt_f32_i32_e32 v207, v207                               // 000000007E68: 7F9E0BCF
	v_pk_mul_f32 v[204:205], v[42:43], v[204:205]              // 000000007E6C: D3B140CC 1803992A
	v_pk_mul_f32 v[206:207], v[42:43], v[206:207]              // 000000007E74: D3B140CE 18039D2A
	v_mul_f32_dpp v204, v13, v204 row_newbcast:0 row_mask:0xf bank_mask:0xf// 000000007E7C: 0B9998FA FF01500D
	v_mul_f32_dpp v205, v13, v205 row_newbcast:1 row_mask:0xf bank_mask:0xf// 000000007E84: 0B9B9AFA FF01510D
	v_mul_f32_dpp v206, v13, v206 row_newbcast:2 row_mask:0xf bank_mask:0xf// 000000007E8C: 0B9D9CFA FF01520D
	v_mul_f32_dpp v207, v13, v207 row_newbcast:3 row_mask:0xf bank_mask:0xf// 000000007E94: 0B9F9EFA FF01530D
	v_pk_mul_f32 v[204:205], v[44:45], v[204:205]              // 000000007E9C: D3B140CC 1803992C
	v_pk_mul_f32 v[206:207], v[44:45], v[206:207]              // 000000007EA4: D3B140CE 18039D2C
	v_cvt_f32_i32_e32 v212, v212                               // 000000007EAC: 7FA80BD4
	v_cvt_f32_i32_e32 v213, v213                               // 000000007EB0: 7FAA0BD5
	v_cvt_f32_i32_e32 v214, v214                               // 000000007EB4: 7FAC0BD6
	v_cvt_f32_i32_e32 v215, v215                               // 000000007EB8: 7FAE0BD7
	v_pk_mul_f32 v[212:213], v[42:43], v[212:213]              // 000000007EBC: D3B140D4 1803A92A
	v_pk_mul_f32 v[214:215], v[42:43], v[214:215]              // 000000007EC4: D3B140D6 1803AD2A
	v_mul_f32_dpp v212, v13, v212 row_newbcast:4 row_mask:0xf bank_mask:0xf// 000000007ECC: 0BA9A8FA FF01540D
	v_mul_f32_dpp v213, v13, v213 row_newbcast:5 row_mask:0xf bank_mask:0xf// 000000007ED4: 0BABAAFA FF01550D
	v_mul_f32_dpp v214, v13, v214 row_newbcast:6 row_mask:0xf bank_mask:0xf// 000000007EDC: 0BADACFA FF01560D
	v_mul_f32_dpp v215, v13, v215 row_newbcast:7 row_mask:0xf bank_mask:0xf// 000000007EE4: 0BAFAEFA FF01570D
	v_pk_mul_f32 v[212:213], v[44:45], v[212:213]              // 000000007EEC: D3B140D4 1803A92C
	v_pk_mul_f32 v[214:215], v[44:45], v[214:215]              // 000000007EF4: D3B140D6 1803AD2C
	v_cvt_f32_i32_e32 v220, v220                               // 000000007EFC: 7FB80BDC
	v_cvt_f32_i32_e32 v221, v221                               // 000000007F00: 7FBA0BDD
	v_cvt_f32_i32_e32 v222, v222                               // 000000007F04: 7FBC0BDE
	v_cvt_f32_i32_e32 v223, v223                               // 000000007F08: 7FBE0BDF
	v_pk_mul_f32 v[220:221], v[42:43], v[220:221]              // 000000007F0C: D3B140DC 1803B92A
	v_pk_mul_f32 v[222:223], v[42:43], v[222:223]              // 000000007F14: D3B140DE 1803BD2A
	v_mul_f32_dpp v220, v13, v220 row_newbcast:8 row_mask:0xf bank_mask:0xf// 000000007F1C: 0BB9B8FA FF01580D
	v_mul_f32_dpp v221, v13, v221 row_newbcast:9 row_mask:0xf bank_mask:0xf// 000000007F24: 0BBBBAFA FF01590D
	v_mul_f32_dpp v222, v13, v222 row_newbcast:10 row_mask:0xf bank_mask:0xf// 000000007F2C: 0BBDBCFA FF015A0D
	v_mul_f32_dpp v223, v13, v223 row_newbcast:11 row_mask:0xf bank_mask:0xf// 000000007F34: 0BBFBEFA FF015B0D
	v_pk_mul_f32 v[220:221], v[44:45], v[220:221]              // 000000007F3C: D3B140DC 1803B92C
	v_pk_mul_f32 v[222:223], v[44:45], v[222:223]              // 000000007F44: D3B140DE 1803BD2C
	v_cvt_f32_i32_e32 v228, v228                               // 000000007F4C: 7FC80BE4
	v_cvt_f32_i32_e32 v229, v229                               // 000000007F50: 7FCA0BE5
	v_cvt_f32_i32_e32 v230, v230                               // 000000007F54: 7FCC0BE6
	v_cvt_f32_i32_e32 v231, v231                               // 000000007F58: 7FCE0BE7
	v_pk_mul_f32 v[228:229], v[42:43], v[228:229]              // 000000007F5C: D3B140E4 1803C92A
	v_pk_mul_f32 v[230:231], v[42:43], v[230:231]              // 000000007F64: D3B140E6 1803CD2A
	v_mul_f32_dpp v228, v13, v228 row_newbcast:12 row_mask:0xf bank_mask:0xf// 000000007F6C: 0BC9C8FA FF015C0D
	v_mul_f32_dpp v229, v13, v229 row_newbcast:13 row_mask:0xf bank_mask:0xf// 000000007F74: 0BCBCAFA FF015D0D
	v_mul_f32_dpp v230, v13, v230 row_newbcast:14 row_mask:0xf bank_mask:0xf// 000000007F7C: 0BCDCCFA FF015E0D
	v_mul_f32_dpp v231, v13, v231 row_newbcast:15 row_mask:0xf bank_mask:0xf// 000000007F84: 0BCFCEFA FF015F0D
	v_pk_mul_f32 v[228:229], v[44:45], v[228:229]              // 000000007F8C: D3B140E4 1803C92C
	v_pk_mul_f32 v[230:231], v[44:45], v[230:231]              // 000000007F94: D3B140E6 1803CD2C
	v_cvt_pkrtz_f16_f32 v200, v200, v201                       // 000000007F9C: D29600C8 000393C8
	v_cvt_pkrtz_f16_f32 v201, v202, v203                       // 000000007FA4: D29600C9 000397CA
	v_cvt_pkrtz_f16_f32 v202, v204, v205                       // 000000007FAC: D29600CA 00039BCC
	v_cvt_pkrtz_f16_f32 v203, v206, v207                       // 000000007FB4: D29600CB 00039FCE
	v_cvt_pkrtz_f16_f32 v204, v208, v209                       // 000000007FBC: D29600CC 0003A3D0
	v_cvt_pkrtz_f16_f32 v205, v210, v211                       // 000000007FC4: D29600CD 0003A7D2
	v_cvt_pkrtz_f16_f32 v206, v212, v213                       // 000000007FCC: D29600CE 0003ABD4
	v_cvt_pkrtz_f16_f32 v207, v214, v215                       // 000000007FD4: D29600CF 0003AFD6
	v_cvt_pkrtz_f16_f32 v208, v216, v217                       // 000000007FDC: D29600D0 0003B3D8
	v_cvt_pkrtz_f16_f32 v209, v218, v219                       // 000000007FE4: D29600D1 0003B7DA
	v_cvt_pkrtz_f16_f32 v210, v220, v221                       // 000000007FEC: D29600D2 0003BBDC
	v_cvt_pkrtz_f16_f32 v211, v222, v223                       // 000000007FF4: D29600D3 0003BFDE
	v_cvt_pkrtz_f16_f32 v212, v224, v225                       // 000000007FFC: D29600D4 0003C3E0
	v_cvt_pkrtz_f16_f32 v213, v226, v227                       // 000000008004: D29600D5 0003C7E2
	v_cvt_pkrtz_f16_f32 v214, v228, v229                       // 00000000800C: D29600D6 0003CBE4
	v_cvt_pkrtz_f16_f32 v215, v230, v231                       // 000000008014: D29600D7 0003CFE6
	s_cmp_ge_u32 s80, 0x200                                    // 00000000801C: BF09FF50 00000200
	s_cselect_b32 s59, 0x200, s59                              // 000000008024: 853B3BFF 00000200
	s_mov_b64 exec, s[20:21]                                   // 00000000802C: BEFE0114
	global_atomic_pk_add_f16 v80, v64, s[8:9]                  // 000000008030: DD388000 00084050
	s_mov_b64 exec, s[36:37]                                   // 000000008038: BEFE0124
	s_mov_b64 exec, s[20:21]                                   // 00000000803C: BEFE0114
	global_atomic_pk_add_f16 v80, v65, s[8:9] offset:256       // 000000008040: DD388100 00084150
	s_mov_b64 exec, s[36:37]                                   // 000000008048: BEFE0124
	s_mov_b64 exec, s[22:23]                                   // 00000000804C: BEFE0116
	global_atomic_pk_add_f16 v82, v66, s[8:9]                  // 000000008050: DD388000 00084252
	s_mov_b64 exec, s[36:37]                                   // 000000008058: BEFE0124
	s_mov_b64 exec, s[22:23]                                   // 00000000805C: BEFE0116
	global_atomic_pk_add_f16 v82, v67, s[8:9] offset:256       // 000000008060: DD388100 00084352
	s_mov_b64 exec, s[36:37]                                   // 000000008068: BEFE0124
	s_mov_b64 exec, s[24:25]                                   // 00000000806C: BEFE0118
	global_atomic_pk_add_f16 v84, v68, s[8:9]                  // 000000008070: DD388000 00084454
	s_mov_b64 exec, s[36:37]                                   // 000000008078: BEFE0124
	s_mov_b64 exec, s[24:25]                                   // 00000000807C: BEFE0118
	global_atomic_pk_add_f16 v84, v69, s[8:9] offset:256       // 000000008080: DD388100 00084554
	s_mov_b64 exec, s[36:37]                                   // 000000008088: BEFE0124
	s_mov_b64 exec, s[26:27]                                   // 00000000808C: BEFE011A
	global_atomic_pk_add_f16 v86, v70, s[8:9]                  // 000000008090: DD388000 00084656
	s_mov_b64 exec, s[36:37]                                   // 000000008098: BEFE0124
	s_mov_b64 exec, s[26:27]                                   // 00000000809C: BEFE011A
	global_atomic_pk_add_f16 v86, v71, s[8:9] offset:256       // 0000000080A0: DD388100 00084756
	s_mov_b64 exec, s[36:37]                                   // 0000000080A8: BEFE0124
	s_mov_b64 exec, s[28:29]                                   // 0000000080AC: BEFE011C
	global_atomic_pk_add_f16 v88, v72, s[8:9]                  // 0000000080B0: DD388000 00084858
	s_mov_b64 exec, s[36:37]                                   // 0000000080B8: BEFE0124
	s_mov_b64 exec, s[28:29]                                   // 0000000080BC: BEFE011C
	global_atomic_pk_add_f16 v88, v73, s[8:9] offset:256       // 0000000080C0: DD388100 00084958
	s_mov_b64 exec, s[36:37]                                   // 0000000080C8: BEFE0124
	s_mov_b64 exec, s[30:31]                                   // 0000000080CC: BEFE011E
	global_atomic_pk_add_f16 v90, v74, s[8:9]                  // 0000000080D0: DD388000 00084A5A
	s_mov_b64 exec, s[36:37]                                   // 0000000080D8: BEFE0124
	s_mov_b64 exec, s[30:31]                                   // 0000000080DC: BEFE011E
	global_atomic_pk_add_f16 v90, v75, s[8:9] offset:256       // 0000000080E0: DD388100 00084B5A
	s_mov_b64 exec, s[36:37]                                   // 0000000080E8: BEFE0124
	s_mov_b64 exec, s[32:33]                                   // 0000000080EC: BEFE0120
	global_atomic_pk_add_f16 v92, v76, s[8:9]                  // 0000000080F0: DD388000 00084C5C
	s_mov_b64 exec, s[36:37]                                   // 0000000080F8: BEFE0124
	s_mov_b64 exec, s[32:33]                                   // 0000000080FC: BEFE0120
	global_atomic_pk_add_f16 v92, v77, s[8:9] offset:256       // 000000008100: DD388100 00084D5C
	s_mov_b64 exec, s[36:37]                                   // 000000008108: BEFE0124
	s_mov_b64 exec, s[34:35]                                   // 00000000810C: BEFE0122
	global_atomic_pk_add_f16 v94, v78, s[8:9]                  // 000000008110: DD388000 00084E5E
	s_mov_b64 exec, s[36:37]                                   // 000000008118: BEFE0124
	s_mov_b64 exec, s[34:35]                                   // 00000000811C: BEFE0122
	global_atomic_pk_add_f16 v94, v79, s[8:9] offset:256       // 000000008120: DD388100 00084F5E
	s_mov_b64 exec, s[36:37]                                   // 000000008128: BEFE0124
	s_add_u32 s8, s59, s8                                      // 00000000812C: 8008083B
	s_addc_u32 s9, 0, s9                                       // 000000008130: 82090980
	s_addk_i32 s80, 0x100                                      // 000000008134: B7500100
	s_cmp_lt_i32 s80, s81                                      // 000000008138: BF045150
	s_cbranch_scc0 label_14D1                                  // 00000000813C: BF840001
	s_branch label_108A                                        // 000000008140: BF82FBB9

0000000000008144 <label_14D1>:
	s_nop 0                                                    // 000000008144: BF800000
	s_nop 0                                                    // 000000008148: BF800000
	s_branch label_25B1                                        // 00000000814C: BF8210DD

0000000000008150 <label_14D4>:
	v_mov_b32_e32 v240, v24                                    // 000000008150: 7FE00318
	v_mov_b32_e32 v242, v25                                    // 000000008154: 7FE40319
	v_mov_b32_e32 v241, v240                                   // 000000008158: 7FE203F0
	v_mov_b32_e32 v243, v242                                   // 00000000815C: 7FE603F2
	s_waitcnt vmcnt(12) lgkmcnt(0)                             // 000000008160: BF8C007C
	s_barrier                                                  // 000000008164: BF8A0000
	v_mfma_i32_16x16x32_i8 v[232:235], a[0:1], v[168:169], 0   // 000000008168: D3D700E8 0A035100
	buffer_load_dwordx4 a[80:83], v36, s[92:95], 0 offen       // 000000008170: E05C1000 80975024
	v_mfma_i32_16x16x32_i8 v[232:235], a[2:3], v[170:171], v[232:235]// 000000008178: D3D700E8 0FA35502
	v_mfma_i32_16x16x32_i8 v[232:235], a[4:5], v[172:173], v[232:235]// 000000008180: D3D700E8 0FA35904
	buffer_load_dword v28, s[20:23], 0 offen lds               // 000000008188: E0511000 8005001C
	buffer_load_dword v28, s[20:23], 0 offen offset:256 lds    // 000000008190: E0511100 8005001C
	s_add_u32 m0, 0x820, s51                                   // 000000008198: 807C33FF 00000820
	v_mfma_i32_16x16x32_i8 v[232:235], a[6:7], v[174:175], v[232:235]// 0000000081A0: D3D700E8 0FA35D06
	v_mfma_i32_16x16x32_i8 v[232:235], a[8:9], v[176:177], v[232:235]// 0000000081A8: D3D700E8 0FA36108
	buffer_load_dwordx4 a[84:87], v36, s[92:95], 0 offen offset:1024// 0000000081B0: E05C1400 80975424
	v_mfma_i32_16x16x32_i8 v[232:235], a[10:11], v[178:179], v[232:235]// 0000000081B8: D3D700E8 0FA3650A
	v_mfma_i32_16x16x32_i8 v[232:235], a[12:13], v[180:181], v[232:235]// 0000000081C0: D3D700E8 0FA3690C
	buffer_load_dword v29, s[20:23], 0 offen lds               // 0000000081C8: E0511000 8005001D
	buffer_load_dword v29, s[20:23], 0 offen offset:256 lds    // 0000000081D0: E0511100 8005001D
	s_add_u32 m0, 0x1040, s51                                  // 0000000081D8: 807C33FF 00001040
	v_mfma_i32_16x16x32_i8 v[232:235], a[14:15], v[182:183], v[232:235]// 0000000081E0: D3D700E8 0FA36D0E
	v_mfma_i32_16x16x32_i8 v[236:239], a[0:1], v[184:185], 0   // 0000000081E8: D3D700EC 0A037100
	buffer_load_dwordx4 a[88:91], v36, s[92:95], 0 offen offset:2048// 0000000081F0: E05C1800 80975824
	v_mfma_i32_16x16x32_i8 v[236:239], a[2:3], v[186:187], v[236:239]// 0000000081F8: D3D700EC 0FB37502
	v_mfma_i32_16x16x32_i8 v[236:239], a[4:5], v[188:189], v[236:239]// 000000008200: D3D700EC 0FB37904
	buffer_load_dword v30, s[20:23], 0 offen lds               // 000000008208: E0511000 8005001E
	buffer_load_dword v30, s[20:23], 0 offen offset:256 lds    // 000000008210: E0511100 8005001E
	s_add_u32 m0, 0x1860, s51                                  // 000000008218: 807C33FF 00001860
	v_mfma_i32_16x16x32_i8 v[236:239], a[6:7], v[190:191], v[236:239]// 000000008220: D3D700EC 0FB37D06
	v_mfma_i32_16x16x32_i8 v[236:239], a[8:9], v[192:193], v[236:239]// 000000008228: D3D700EC 0FB38108
	buffer_load_dwordx4 a[92:95], v36, s[92:95], 0 offen offset:3072// 000000008230: E05C1C00 80975C24
	v_mfma_i32_16x16x32_i8 v[236:239], a[10:11], v[194:195], v[236:239]// 000000008238: D3D700EC 0FB3850A
	v_mfma_i32_16x16x32_i8 v[236:239], a[12:13], v[196:197], v[236:239]// 000000008240: D3D700EC 0FB3890C
	buffer_load_dword v31, s[20:23], 0 offen lds               // 000000008248: E0511000 8005001F
	buffer_load_dword v31, s[20:23], 0 offen offset:256 lds    // 000000008250: E0511100 8005001F
	s_add_u32 m0, 0x2080, s51                                  // 000000008258: 807C33FF 00002080
	v_mfma_i32_16x16x32_i8 v[236:239], a[14:15], v[198:199], v[236:239]// 000000008260: D3D700EC 0FB38D0E
	v_cvt_f32_i32_e32 v232, v232                               // 000000008268: 7FD00BE8
	v_cvt_f32_i32_e32 v233, v233                               // 00000000826C: 7FD20BE9
	v_cvt_f32_i32_e32 v234, v234                               // 000000008270: 7FD40BEA
	v_cvt_f32_i32_e32 v235, v235                               // 000000008274: 7FD60BEB
	v_pk_fma_f32 v[128:129], v[232:233], v[240:241], v[128:129]// 000000008278: D3B04080 1E03E1E8
	v_pk_fma_f32 v[130:131], v[234:235], v[240:241], v[130:131]// 000000008280: D3B04082 1E0BE1EA
	v_mfma_i32_16x16x32_i8 v[232:235], a[16:17], v[168:169], 0 // 000000008288: D3D700E8 0A035110
	buffer_load_dwordx4 a[96:99], v37, s[92:95], 0 offen       // 000000008290: E05C1000 80976025
	v_mfma_i32_16x16x32_i8 v[232:235], a[18:19], v[170:171], v[232:235]// 000000008298: D3D700E8 0FA35512
	v_mfma_i32_16x16x32_i8 v[232:235], a[20:21], v[172:173], v[232:235]// 0000000082A0: D3D700E8 0FA35914
	buffer_load_dword v32, s[20:23], 0 offen lds               // 0000000082A8: E0511000 80050020
	buffer_load_dword v32, s[20:23], 0 offen offset:256 lds    // 0000000082B0: E0511100 80050020
	s_add_u32 m0, 0x28a0, s51                                  // 0000000082B8: 807C33FF 000028A0
	v_mfma_i32_16x16x32_i8 v[232:235], a[22:23], v[174:175], v[232:235]// 0000000082C0: D3D700E8 0FA35D16
	v_mfma_i32_16x16x32_i8 v[232:235], a[24:25], v[176:177], v[232:235]// 0000000082C8: D3D700E8 0FA36118
	buffer_load_dwordx4 a[100:103], v37, s[92:95], 0 offen offset:1024// 0000000082D0: E05C1400 80976425
	v_mfma_i32_16x16x32_i8 v[232:235], a[26:27], v[178:179], v[232:235]// 0000000082D8: D3D700E8 0FA3651A
	v_mfma_i32_16x16x32_i8 v[232:235], a[28:29], v[180:181], v[232:235]// 0000000082E0: D3D700E8 0FA3691C
	buffer_load_dword v33, s[20:23], 0 offen lds               // 0000000082E8: E0511000 80050021
	buffer_load_dword v33, s[20:23], 0 offen offset:256 lds    // 0000000082F0: E0511100 80050021
	s_add_u32 m0, 0x30c0, s51                                  // 0000000082F8: 807C33FF 000030C0
	v_mfma_i32_16x16x32_i8 v[232:235], a[30:31], v[182:183], v[232:235]// 000000008300: D3D700E8 0FA36D1E
	v_cvt_f32_i32_e32 v236, v236                               // 000000008308: 7FD80BEC
	v_cvt_f32_i32_e32 v237, v237                               // 00000000830C: 7FDA0BED
	v_cvt_f32_i32_e32 v238, v238                               // 000000008310: 7FDC0BEE
	v_cvt_f32_i32_e32 v239, v239                               // 000000008314: 7FDE0BEF
	v_pk_fma_f32 v[132:133], v[236:237], v[242:243], v[132:133]// 000000008318: D3B04084 1E13E5EC
	v_pk_fma_f32 v[134:135], v[238:239], v[242:243], v[134:135]// 000000008320: D3B04086 1E1BE5EE
	v_mfma_i32_16x16x32_i8 v[236:239], a[16:17], v[184:185], 0 // 000000008328: D3D700EC 0A037110
	buffer_load_dwordx4 a[104:107], v37, s[92:95], 0 offen offset:2048// 000000008330: E05C1800 80976825
	v_mfma_i32_16x16x32_i8 v[236:239], a[18:19], v[186:187], v[236:239]// 000000008338: D3D700EC 0FB37512
	v_mfma_i32_16x16x32_i8 v[236:239], a[20:21], v[188:189], v[236:239]// 000000008340: D3D700EC 0FB37914
	buffer_load_dword v34, s[20:23], 0 offen lds               // 000000008348: E0511000 80050022
	buffer_load_dword v34, s[20:23], 0 offen offset:256 lds    // 000000008350: E0511100 80050022
	s_add_u32 m0, 0x38e0, s51                                  // 000000008358: 807C33FF 000038E0
	v_mfma_i32_16x16x32_i8 v[236:239], a[22:23], v[190:191], v[236:239]// 000000008360: D3D700EC 0FB37D16
	v_mfma_i32_16x16x32_i8 v[236:239], a[24:25], v[192:193], v[236:239]// 000000008368: D3D700EC 0FB38118
	buffer_load_dwordx4 a[108:111], v37, s[92:95], 0 offen offset:3072// 000000008370: E05C1C00 80976C25
	v_mfma_i32_16x16x32_i8 v[236:239], a[26:27], v[194:195], v[236:239]// 000000008378: D3D700EC 0FB3851A
	v_mfma_i32_16x16x32_i8 v[236:239], a[28:29], v[196:197], v[236:239]// 000000008380: D3D700EC 0FB3891C
	buffer_load_dword v35, s[20:23], 0 offen lds               // 000000008388: E0511000 80050023
	buffer_load_dword v35, s[20:23], 0 offen offset:256 lds    // 000000008390: E0511100 80050023
	s_add_u32 m0, 0, s50                                       // 000000008398: 807C3280
	v_mfma_i32_16x16x32_i8 v[236:239], a[30:31], v[198:199], v[236:239]// 00000000839C: D3D700EC 0FB38D1E
	buffer_load_dword v15, v6, s[28:31], 0 offen               // 0000000083A4: E0501000 80070F06
	v_cvt_f32_i32_e32 v232, v232                               // 0000000083AC: 7FD00BE8
	v_cvt_f32_i32_e32 v233, v233                               // 0000000083B0: 7FD20BE9
	v_cvt_f32_i32_e32 v234, v234                               // 0000000083B4: 7FD40BEA
	v_cvt_f32_i32_e32 v235, v235                               // 0000000083B8: 7FD60BEB
	v_pk_fma_f32 v[136:137], v[232:233], v[240:241], v[136:137]// 0000000083BC: D3B04088 1E23E1E8
	v_pk_fma_f32 v[138:139], v[234:235], v[240:241], v[138:139]// 0000000083C4: D3B0408A 1E2BE1EA
	s_waitcnt vmcnt(33)                                        // 0000000083CC: BF8C8F71
	v_mfma_i32_16x16x32_i8 v[232:235], a[32:33], v[168:169], 0 // 0000000083D0: D3D700E8 0A035120
	buffer_load_dwordx4 a[112:115], v38, s[92:95], 0 offen     // 0000000083D8: E05C1000 80977026
	v_mfma_i32_16x16x32_i8 v[232:235], a[34:35], v[170:171], v[232:235]// 0000000083E0: D3D700E8 0FA35522
	v_mfma_i32_16x16x32_i8 v[232:235], a[36:37], v[172:173], v[232:235]// 0000000083E8: D3D700E8 0FA35924
	v_mfma_i32_16x16x32_i8 v[232:235], a[38:39], v[174:175], v[232:235]// 0000000083F0: D3D700E8 0FA35D26
	v_mfma_i32_16x16x32_i8 v[232:235], a[40:41], v[176:177], v[232:235]// 0000000083F8: D3D700E8 0FA36128
	buffer_load_dwordx4 a[116:119], v38, s[92:95], 0 offen offset:1024// 000000008400: E05C1400 80977426
	v_mfma_i32_16x16x32_i8 v[232:235], a[42:43], v[178:179], v[232:235]// 000000008408: D3D700E8 0FA3652A
	v_mfma_i32_16x16x32_i8 v[232:235], a[44:45], v[180:181], v[232:235]// 000000008410: D3D700E8 0FA3692C
	v_mfma_i32_16x16x32_i8 v[232:235], a[46:47], v[182:183], v[232:235]// 000000008418: D3D700E8 0FA36D2E
	v_cvt_f32_i32_e32 v236, v236                               // 000000008420: 7FD80BEC
	v_cvt_f32_i32_e32 v237, v237                               // 000000008424: 7FDA0BED
	v_cvt_f32_i32_e32 v238, v238                               // 000000008428: 7FDC0BEE
	v_cvt_f32_i32_e32 v239, v239                               // 00000000842C: 7FDE0BEF
	v_pk_fma_f32 v[140:141], v[236:237], v[242:243], v[140:141]// 000000008430: D3B0408C 1E33E5EC
	v_pk_fma_f32 v[142:143], v[238:239], v[242:243], v[142:143]// 000000008438: D3B0408E 1E3BE5EE
	v_mfma_i32_16x16x32_i8 v[236:239], a[32:33], v[184:185], 0 // 000000008440: D3D700EC 0A037120
	buffer_load_dwordx4 a[120:123], v38, s[92:95], 0 offen offset:2048// 000000008448: E05C1800 80977826
	v_mfma_i32_16x16x32_i8 v[236:239], a[34:35], v[186:187], v[236:239]// 000000008450: D3D700EC 0FB37522
	v_mfma_i32_16x16x32_i8 v[236:239], a[36:37], v[188:189], v[236:239]// 000000008458: D3D700EC 0FB37924
	v_mfma_i32_16x16x32_i8 v[236:239], a[38:39], v[190:191], v[236:239]// 000000008460: D3D700EC 0FB37D26
	v_mfma_i32_16x16x32_i8 v[236:239], a[40:41], v[192:193], v[236:239]// 000000008468: D3D700EC 0FB38128
	buffer_load_dwordx4 a[124:127], v38, s[92:95], 0 offen offset:3072// 000000008470: E05C1C00 80977C26
	v_mfma_i32_16x16x32_i8 v[236:239], a[42:43], v[194:195], v[236:239]// 000000008478: D3D700EC 0FB3852A
	v_mfma_i32_16x16x32_i8 v[236:239], a[44:45], v[196:197], v[236:239]// 000000008480: D3D700EC 0FB3892C
	v_mfma_i32_16x16x32_i8 v[236:239], a[46:47], v[198:199], v[236:239]// 000000008488: D3D700EC 0FB38D2E
	v_cvt_f32_i32_e32 v232, v232                               // 000000008490: 7FD00BE8
	v_cvt_f32_i32_e32 v233, v233                               // 000000008494: 7FD20BE9
	v_cvt_f32_i32_e32 v234, v234                               // 000000008498: 7FD40BEA
	v_cvt_f32_i32_e32 v235, v235                               // 00000000849C: 7FD60BEB
	v_pk_fma_f32 v[144:145], v[232:233], v[240:241], v[144:145]// 0000000084A0: D3B04090 1E43E1E8
	v_pk_fma_f32 v[146:147], v[234:235], v[240:241], v[146:147]// 0000000084A8: D3B04092 1E4BE1EA
	s_waitcnt vmcnt(33)                                        // 0000000084B0: BF8C8F71
	v_mfma_i32_16x16x32_i8 v[232:235], a[48:49], v[168:169], 0 // 0000000084B4: D3D700E8 0A035130
	buffer_load_dwordx4 a[128:131], v39, s[92:95], 0 offen     // 0000000084BC: E05C1000 80978027
	v_mfma_i32_16x16x32_i8 v[232:235], a[50:51], v[170:171], v[232:235]// 0000000084C4: D3D700E8 0FA35532
	v_mfma_i32_16x16x32_i8 v[232:235], a[52:53], v[172:173], v[232:235]// 0000000084CC: D3D700E8 0FA35934
	v_mfma_i32_16x16x32_i8 v[232:235], a[54:55], v[174:175], v[232:235]// 0000000084D4: D3D700E8 0FA35D36
	v_mfma_i32_16x16x32_i8 v[232:235], a[56:57], v[176:177], v[232:235]// 0000000084DC: D3D700E8 0FA36138
	buffer_load_dwordx4 a[132:135], v39, s[92:95], 0 offen offset:1024// 0000000084E4: E05C1400 80978427
	v_mfma_i32_16x16x32_i8 v[232:235], a[58:59], v[178:179], v[232:235]// 0000000084EC: D3D700E8 0FA3653A
	v_mfma_i32_16x16x32_i8 v[232:235], a[60:61], v[180:181], v[232:235]// 0000000084F4: D3D700E8 0FA3693C
	v_mfma_i32_16x16x32_i8 v[232:235], a[62:63], v[182:183], v[232:235]// 0000000084FC: D3D700E8 0FA36D3E
	v_cvt_f32_i32_e32 v236, v236                               // 000000008504: 7FD80BEC
	v_cvt_f32_i32_e32 v237, v237                               // 000000008508: 7FDA0BED
	v_cvt_f32_i32_e32 v238, v238                               // 00000000850C: 7FDC0BEE
	v_cvt_f32_i32_e32 v239, v239                               // 000000008510: 7FDE0BEF
	v_pk_fma_f32 v[148:149], v[236:237], v[242:243], v[148:149]// 000000008514: D3B04094 1E53E5EC
	v_pk_fma_f32 v[150:151], v[238:239], v[242:243], v[150:151]// 00000000851C: D3B04096 1E5BE5EE
	v_mfma_i32_16x16x32_i8 v[236:239], a[48:49], v[184:185], 0 // 000000008524: D3D700EC 0A037130
	buffer_load_dwordx4 a[136:139], v39, s[92:95], 0 offen offset:2048// 00000000852C: E05C1800 80978827
	v_mfma_i32_16x16x32_i8 v[236:239], a[50:51], v[186:187], v[236:239]// 000000008534: D3D700EC 0FB37532
	v_mfma_i32_16x16x32_i8 v[236:239], a[52:53], v[188:189], v[236:239]// 00000000853C: D3D700EC 0FB37934
	v_mfma_i32_16x16x32_i8 v[236:239], a[54:55], v[190:191], v[236:239]// 000000008544: D3D700EC 0FB37D36
	v_mfma_i32_16x16x32_i8 v[236:239], a[56:57], v[192:193], v[236:239]// 00000000854C: D3D700EC 0FB38138
	buffer_load_dwordx4 a[140:143], v39, s[92:95], 0 offen offset:3072// 000000008554: E05C1C00 80978C27
	v_mfma_i32_16x16x32_i8 v[236:239], a[58:59], v[194:195], v[236:239]// 00000000855C: D3D700EC 0FB3853A
	v_mfma_i32_16x16x32_i8 v[236:239], a[60:61], v[196:197], v[236:239]// 000000008564: D3D700EC 0FB3893C
	v_mfma_i32_16x16x32_i8 v[236:239], a[62:63], v[198:199], v[236:239]// 00000000856C: D3D700EC 0FB38D3E
	v_cvt_f32_i32_e32 v232, v232                               // 000000008574: 7FD00BE8
	v_cvt_f32_i32_e32 v233, v233                               // 000000008578: 7FD20BE9
	v_cvt_f32_i32_e32 v234, v234                               // 00000000857C: 7FD40BEA
	v_cvt_f32_i32_e32 v235, v235                               // 000000008580: 7FD60BEB
	v_pk_fma_f32 v[152:153], v[232:233], v[240:241], v[152:153]// 000000008584: D3B04098 1E63E1E8
	v_pk_fma_f32 v[154:155], v[234:235], v[240:241], v[154:155]// 00000000858C: D3B0409A 1E6BE1EA
	s_waitcnt vmcnt(33)                                        // 000000008594: BF8C8F71
	v_mfma_i32_16x16x32_i8 v[232:235], a[64:65], v[168:169], 0 // 000000008598: D3D700E8 0A035140
	buffer_load_dwordx4 a[144:147], v40, s[92:95], 0 offen     // 0000000085A0: E05C1000 80979028
	v_mfma_i32_16x16x32_i8 v[232:235], a[66:67], v[170:171], v[232:235]// 0000000085A8: D3D700E8 0FA35542
	v_mfma_i32_16x16x32_i8 v[232:235], a[68:69], v[172:173], v[232:235]// 0000000085B0: D3D700E8 0FA35944
	v_mfma_i32_16x16x32_i8 v[232:235], a[70:71], v[174:175], v[232:235]// 0000000085B8: D3D700E8 0FA35D46
	v_mfma_i32_16x16x32_i8 v[232:235], a[72:73], v[176:177], v[232:235]// 0000000085C0: D3D700E8 0FA36148
	buffer_load_dwordx4 a[148:151], v40, s[92:95], 0 offen offset:1024// 0000000085C8: E05C1400 80979428
	v_mfma_i32_16x16x32_i8 v[232:235], a[74:75], v[178:179], v[232:235]// 0000000085D0: D3D700E8 0FA3654A
	v_mfma_i32_16x16x32_i8 v[232:235], a[76:77], v[180:181], v[232:235]// 0000000085D8: D3D700E8 0FA3694C
	v_mfma_i32_16x16x32_i8 v[232:235], a[78:79], v[182:183], v[232:235]// 0000000085E0: D3D700E8 0FA36D4E
	v_cvt_f32_i32_e32 v236, v236                               // 0000000085E8: 7FD80BEC
	v_cvt_f32_i32_e32 v237, v237                               // 0000000085EC: 7FDA0BED
	v_cvt_f32_i32_e32 v238, v238                               // 0000000085F0: 7FDC0BEE
	v_cvt_f32_i32_e32 v239, v239                               // 0000000085F4: 7FDE0BEF
	v_pk_fma_f32 v[156:157], v[236:237], v[242:243], v[156:157]// 0000000085F8: D3B0409C 1E73E5EC
	v_pk_fma_f32 v[158:159], v[238:239], v[242:243], v[158:159]// 000000008600: D3B0409E 1E7BE5EE
	v_mfma_i32_16x16x32_i8 v[236:239], a[64:65], v[184:185], 0 // 000000008608: D3D700EC 0A037140
	buffer_load_dwordx4 a[152:155], v40, s[92:95], 0 offen offset:2048// 000000008610: E05C1800 80979828
	v_mfma_i32_16x16x32_i8 v[236:239], a[66:67], v[186:187], v[236:239]// 000000008618: D3D700EC 0FB37542
	v_mfma_i32_16x16x32_i8 v[236:239], a[68:69], v[188:189], v[236:239]// 000000008620: D3D700EC 0FB37944
	v_mfma_i32_16x16x32_i8 v[236:239], a[70:71], v[190:191], v[236:239]// 000000008628: D3D700EC 0FB37D46
	v_mfma_i32_16x16x32_i8 v[236:239], a[72:73], v[192:193], v[236:239]// 000000008630: D3D700EC 0FB38148
	buffer_load_dwordx4 a[156:159], v40, s[92:95], 0 offen offset:3072// 000000008638: E05C1C00 80979C28
	v_mfma_i32_16x16x32_i8 v[236:239], a[74:75], v[194:195], v[236:239]// 000000008640: D3D700EC 0FB3854A
	v_mfma_i32_16x16x32_i8 v[236:239], a[76:77], v[196:197], v[236:239]// 000000008648: D3D700EC 0FB3894C
	v_mfma_i32_16x16x32_i8 v[236:239], a[78:79], v[198:199], v[236:239]// 000000008650: D3D700EC 0FB38D4E
	v_cvt_f32_i32_e32 v232, v232                               // 000000008658: 7FD00BE8
	v_cvt_f32_i32_e32 v233, v233                               // 00000000865C: 7FD20BE9
	v_cvt_f32_i32_e32 v234, v234                               // 000000008660: 7FD40BEA
	v_cvt_f32_i32_e32 v235, v235                               // 000000008664: 7FD60BEB
	v_pk_fma_f32 v[160:161], v[232:233], v[240:241], v[160:161]// 000000008668: D3B040A0 1E83E1E8
	v_pk_fma_f32 v[162:163], v[234:235], v[240:241], v[162:163]// 000000008670: D3B040A2 1E8BE1EA
	v_cvt_f32_i32_e32 v236, v236                               // 000000008678: 7FD80BEC
	v_cvt_f32_i32_e32 v237, v237                               // 00000000867C: 7FDA0BED
	v_cvt_f32_i32_e32 v238, v238                               // 000000008680: 7FDC0BEE
	v_cvt_f32_i32_e32 v239, v239                               // 000000008684: 7FDE0BEF
	v_pk_fma_f32 v[164:165], v[236:237], v[242:243], v[164:165]// 000000008688: D3B040A4 1E93E5EC
	v_pk_fma_f32 v[166:167], v[238:239], v[242:243], v[166:167]// 000000008690: D3B040A6 1E9BE5EE
	s_waitcnt vmcnt(12)                                        // 000000008698: BF8C0F7C
	s_barrier                                                  // 00000000869C: BF8A0000
	v_mfma_i32_16x16x32_i8 v[232:235], a[80:81], v[168:169], 0 // 0000000086A0: D3D700E8 0A035150
	buffer_load_dwordx4 a[0:3], v36, s[24:27], 0 offen         // 0000000086A8: E05C1000 80860024
	v_mfma_i32_16x16x32_i8 v[232:235], a[82:83], v[170:171], v[232:235]// 0000000086B0: D3D700E8 0FA35552
	ds_read_b64 v[200:201], v2 offset:18688                    // 0000000086B8: D8EC4900 C8000002
	ds_read_b64 v[204:205], v2 offset:27008                    // 0000000086C0: D8EC6980 CC000002
	v_mfma_i32_16x16x32_i8 v[232:235], a[84:85], v[172:173], v[232:235]// 0000000086C8: D3D700E8 0FA35954
	v_mfma_i32_16x16x32_i8 v[232:235], a[86:87], v[174:175], v[232:235]// 0000000086D0: D3D700E8 0FA35D56
	ds_read_b64 v[208:209], v2 offset:18816                    // 0000000086D8: D8EC4980 D0000002
	ds_read_b64 v[212:213], v2 offset:27136                    // 0000000086E0: D8EC6A00 D4000002
	v_mfma_i32_16x16x32_i8 v[232:235], a[88:89], v[176:177], v[232:235]// 0000000086E8: D3D700E8 0FA36158
	buffer_load_dwordx4 a[4:7], v36, s[24:27], 0 offen offset:1024// 0000000086F0: E05C1400 80860424
	v_mfma_i32_16x16x32_i8 v[232:235], a[90:91], v[178:179], v[232:235]// 0000000086F8: D3D700E8 0FA3655A
	ds_read_b64 v[216:217], v2 offset:18944                    // 000000008700: D8EC4A00 D8000002
	ds_read_b64 v[220:221], v2 offset:27264                    // 000000008708: D8EC6A80 DC000002
	v_mfma_i32_16x16x32_i8 v[232:235], a[92:93], v[180:181], v[232:235]// 000000008710: D3D700E8 0FA3695C
	v_mfma_i32_16x16x32_i8 v[232:235], a[94:95], v[182:183], v[232:235]// 000000008718: D3D700E8 0FA36D5E
	ds_read_b64 v[224:225], v2 offset:19072                    // 000000008720: D8EC4A80 E0000002
	ds_read_b64 v[228:229], v2 offset:27392                    // 000000008728: D8EC6B00 E4000002
	s_waitcnt lgkmcnt(4)                                       // 000000008730: BF8CC47F
	v_and_b32_e32 v203, 0xffff0000, v201                       // 000000008734: 279792FF FFFF0000
	v_lshlrev_b32_e32 v202, 16, v201                           // 00000000873C: 25959290
	v_and_b32_e32 v201, 0xffff0000, v200                       // 000000008740: 279390FF FFFF0000
	v_lshlrev_b32_e32 v200, 16, v200                           // 000000008748: 25919090
	v_and_b32_e32 v207, 0xffff0000, v205                       // 00000000874C: 279F9AFF FFFF0000
	v_lshlrev_b32_e32 v206, 16, v205                           // 000000008754: 259D9A90
	v_and_b32_e32 v205, 0xffff0000, v204                       // 000000008758: 279B98FF FFFF0000
	v_lshlrev_b32_e32 v204, 16, v204                           // 000000008760: 25999890
	v_and_b32_e32 v211, 0xffff0000, v209                       // 000000008764: 27A7A2FF FFFF0000
	v_lshlrev_b32_e32 v210, 16, v209                           // 00000000876C: 25A5A290
	v_and_b32_e32 v209, 0xffff0000, v208                       // 000000008770: 27A3A0FF FFFF0000
	v_lshlrev_b32_e32 v208, 16, v208                           // 000000008778: 25A1A090
	v_and_b32_e32 v215, 0xffff0000, v213                       // 00000000877C: 27AFAAFF FFFF0000
	v_lshlrev_b32_e32 v214, 16, v213                           // 000000008784: 25ADAA90
	v_and_b32_e32 v213, 0xffff0000, v212                       // 000000008788: 27ABA8FF FFFF0000
	v_lshlrev_b32_e32 v212, 16, v212                           // 000000008790: 25A9A890
	v_mul_f32_dpp v200, v15, v200 row_newbcast:0 row_mask:0xf bank_mask:0xf// 000000008794: 0B9190FA FF01500F
	v_mul_f32_dpp v201, v15, v201 row_newbcast:1 row_mask:0xf bank_mask:0xf// 00000000879C: 0B9392FA FF01510F
	v_mul_f32_dpp v202, v15, v202 row_newbcast:2 row_mask:0xf bank_mask:0xf// 0000000087A4: 0B9594FA FF01520F
	v_mul_f32_dpp v203, v15, v203 row_newbcast:3 row_mask:0xf bank_mask:0xf// 0000000087AC: 0B9796FA FF01530F
	v_mul_f32_dpp v204, v15, v204 row_newbcast:0 row_mask:0xf bank_mask:0xf// 0000000087B4: 0B9998FA FF01500F
	v_mul_f32_dpp v205, v15, v205 row_newbcast:1 row_mask:0xf bank_mask:0xf// 0000000087BC: 0B9B9AFA FF01510F
	v_mul_f32_dpp v206, v15, v206 row_newbcast:2 row_mask:0xf bank_mask:0xf// 0000000087C4: 0B9D9CFA FF01520F
	v_mul_f32_dpp v207, v15, v207 row_newbcast:3 row_mask:0xf bank_mask:0xf// 0000000087CC: 0B9F9EFA FF01530F
	v_mul_f32_dpp v208, v15, v208 row_newbcast:4 row_mask:0xf bank_mask:0xf// 0000000087D4: 0BA1A0FA FF01540F
	v_mul_f32_dpp v209, v15, v209 row_newbcast:5 row_mask:0xf bank_mask:0xf// 0000000087DC: 0BA3A2FA FF01550F
	v_mul_f32_dpp v210, v15, v210 row_newbcast:6 row_mask:0xf bank_mask:0xf// 0000000087E4: 0BA5A4FA FF01560F
	v_mul_f32_dpp v211, v15, v211 row_newbcast:7 row_mask:0xf bank_mask:0xf// 0000000087EC: 0BA7A6FA FF01570F
	v_mul_f32_dpp v212, v15, v212 row_newbcast:4 row_mask:0xf bank_mask:0xf// 0000000087F4: 0BA9A8FA FF01540F
	v_mul_f32_dpp v213, v15, v213 row_newbcast:5 row_mask:0xf bank_mask:0xf// 0000000087FC: 0BABAAFA FF01550F
	v_mul_f32_dpp v214, v15, v214 row_newbcast:6 row_mask:0xf bank_mask:0xf// 000000008804: 0BADACFA FF01560F
	v_mul_f32_dpp v215, v15, v215 row_newbcast:7 row_mask:0xf bank_mask:0xf// 00000000880C: 0BAFAEFA FF01570F
	v_mfma_i32_16x16x32_i8 v[236:239], a[80:81], v[184:185], 0 // 000000008814: D3D700EC 0A037150
	buffer_load_dwordx4 a[8:11], v36, s[24:27], 0 offen offset:2048// 00000000881C: E05C1800 80860824
	v_mfma_i32_16x16x32_i8 v[236:239], a[82:83], v[186:187], v[236:239]// 000000008824: D3D700EC 0FB37552
	v_mfma_i32_16x16x32_i8 v[236:239], a[84:85], v[188:189], v[236:239]// 00000000882C: D3D700EC 0FB37954
	v_mfma_i32_16x16x32_i8 v[236:239], a[86:87], v[190:191], v[236:239]// 000000008834: D3D700EC 0FB37D56
	v_mfma_i32_16x16x32_i8 v[236:239], a[88:89], v[192:193], v[236:239]// 00000000883C: D3D700EC 0FB38158
	buffer_load_dwordx4 a[12:15], v36, s[24:27], 0 offen offset:3072// 000000008844: E05C1C00 80860C24
	v_mfma_i32_16x16x32_i8 v[236:239], a[90:91], v[194:195], v[236:239]// 00000000884C: D3D700EC 0FB3855A
	v_mfma_i32_16x16x32_i8 v[236:239], a[92:93], v[196:197], v[236:239]// 000000008854: D3D700EC 0FB3895C
	v_mfma_i32_16x16x32_i8 v[236:239], a[94:95], v[198:199], v[236:239]// 00000000885C: D3D700EC 0FB38D5E
	s_waitcnt lgkmcnt(0)                                       // 000000008864: BF8CC07F
	v_and_b32_e32 v219, 0xffff0000, v217                       // 000000008868: 27B7B2FF FFFF0000
	v_lshlrev_b32_e32 v218, 16, v217                           // 000000008870: 25B5B290
	v_and_b32_e32 v217, 0xffff0000, v216                       // 000000008874: 27B3B0FF FFFF0000
	v_lshlrev_b32_e32 v216, 16, v216                           // 00000000887C: 25B1B090
	v_and_b32_e32 v223, 0xffff0000, v221                       // 000000008880: 27BFBAFF FFFF0000
	v_lshlrev_b32_e32 v222, 16, v221                           // 000000008888: 25BDBA90
	v_and_b32_e32 v221, 0xffff0000, v220                       // 00000000888C: 27BBB8FF FFFF0000
	v_lshlrev_b32_e32 v220, 16, v220                           // 000000008894: 25B9B890
	v_and_b32_e32 v227, 0xffff0000, v225                       // 000000008898: 27C7C2FF FFFF0000
	v_lshlrev_b32_e32 v226, 16, v225                           // 0000000088A0: 25C5C290
	v_and_b32_e32 v225, 0xffff0000, v224                       // 0000000088A4: 27C3C0FF FFFF0000
	v_lshlrev_b32_e32 v224, 16, v224                           // 0000000088AC: 25C1C090
	v_and_b32_e32 v231, 0xffff0000, v229                       // 0000000088B0: 27CFCAFF FFFF0000
	v_lshlrev_b32_e32 v230, 16, v229                           // 0000000088B8: 25CDCA90
	v_and_b32_e32 v229, 0xffff0000, v228                       // 0000000088BC: 27CBC8FF FFFF0000
	v_lshlrev_b32_e32 v228, 16, v228                           // 0000000088C4: 25C9C890
	v_mul_f32_dpp v216, v15, v216 row_newbcast:8 row_mask:0xf bank_mask:0xf// 0000000088C8: 0BB1B0FA FF01580F
	v_mul_f32_dpp v217, v15, v217 row_newbcast:9 row_mask:0xf bank_mask:0xf// 0000000088D0: 0BB3B2FA FF01590F
	v_mul_f32_dpp v218, v15, v218 row_newbcast:10 row_mask:0xf bank_mask:0xf// 0000000088D8: 0BB5B4FA FF015A0F
	v_mul_f32_dpp v219, v15, v219 row_newbcast:11 row_mask:0xf bank_mask:0xf// 0000000088E0: 0BB7B6FA FF015B0F
	v_mul_f32_dpp v220, v15, v220 row_newbcast:8 row_mask:0xf bank_mask:0xf// 0000000088E8: 0BB9B8FA FF01580F
	v_mul_f32_dpp v221, v15, v221 row_newbcast:9 row_mask:0xf bank_mask:0xf// 0000000088F0: 0BBBBAFA FF01590F
	v_mul_f32_dpp v222, v15, v222 row_newbcast:10 row_mask:0xf bank_mask:0xf// 0000000088F8: 0BBDBCFA FF015A0F
	v_mul_f32_dpp v223, v15, v223 row_newbcast:11 row_mask:0xf bank_mask:0xf// 000000008900: 0BBFBEFA FF015B0F
	v_mul_f32_dpp v224, v15, v224 row_newbcast:12 row_mask:0xf bank_mask:0xf// 000000008908: 0BC1C0FA FF015C0F
	v_mul_f32_dpp v225, v15, v225 row_newbcast:13 row_mask:0xf bank_mask:0xf// 000000008910: 0BC3C2FA FF015D0F
	v_mul_f32_dpp v226, v15, v226 row_newbcast:14 row_mask:0xf bank_mask:0xf// 000000008918: 0BC5C4FA FF015E0F
	v_mul_f32_dpp v227, v15, v227 row_newbcast:15 row_mask:0xf bank_mask:0xf// 000000008920: 0BC7C6FA FF015F0F
	v_mul_f32_dpp v228, v15, v228 row_newbcast:12 row_mask:0xf bank_mask:0xf// 000000008928: 0BC9C8FA FF015C0F
	v_mul_f32_dpp v229, v15, v229 row_newbcast:13 row_mask:0xf bank_mask:0xf// 000000008930: 0BCBCAFA FF015D0F
	v_mul_f32_dpp v230, v15, v230 row_newbcast:14 row_mask:0xf bank_mask:0xf// 000000008938: 0BCDCCFA FF015E0F
	v_mul_f32_dpp v231, v15, v231 row_newbcast:15 row_mask:0xf bank_mask:0xf// 000000008940: 0BCFCEFA FF015F0F
	v_cvt_f32_i32_e32 v232, v232                               // 000000008948: 7FD00BE8
	v_cvt_f32_i32_e32 v233, v233                               // 00000000894C: 7FD20BE9
	v_cvt_f32_i32_e32 v234, v234                               // 000000008950: 7FD40BEA
	v_cvt_f32_i32_e32 v235, v235                               // 000000008954: 7FD60BEB
	v_pk_fma_f32 v[64:65], v[232:233], v[240:241], v[64:65]    // 000000008958: D3B04040 1D03E1E8
	v_pk_fma_f32 v[66:67], v[234:235], v[240:241], v[66:67]    // 000000008960: D3B04042 1D0BE1EA
	v_mfma_i32_16x16x32_i8 v[232:235], a[96:97], v[168:169], 0 // 000000008968: D3D700E8 0A035160
	buffer_load_dwordx4 a[16:19], v37, s[24:27], 0 offen       // 000000008970: E05C1000 80861025
	v_mfma_i32_16x16x32_i8 v[232:235], a[98:99], v[170:171], v[232:235]// 000000008978: D3D700E8 0FA35562
	v_mov_b32_e32 v46, 0x358637bd                              // 000000008980: 7E5C02FF 358637BD
	v_mov_b32_e32 v47, 0x358637bd                              // 000000008988: 7E5E02FF 358637BD
	v_max3_f32 v46, |v200|, |v201|, v46                        // 000000008990: D1D3032E 04BB93C8
	v_max3_f32 v46, |v202|, |v203|, v46                        // 000000008998: D1D3032E 04BB97CA
	v_max3_f32 v47, |v204|, |v205|, v47                        // 0000000089A0: D1D3032F 04BF9BCC
	v_max3_f32 v47, |v206|, |v207|, v47                        // 0000000089A8: D1D3032F 04BF9FCE
	v_max3_f32 v46, |v208|, |v209|, v46                        // 0000000089B0: D1D3032E 04BBA3D0
	v_max3_f32 v46, |v210|, |v211|, v46                        // 0000000089B8: D1D3032E 04BBA7D2
	v_max3_f32 v47, |v212|, |v213|, v47                        // 0000000089C0: D1D3032F 04BFABD4
	v_max3_f32 v47, |v214|, |v215|, v47                        // 0000000089C8: D1D3032F 04BFAFD6
	v_max3_f32 v46, |v216|, |v217|, v46                        // 0000000089D0: D1D3032E 04BBB3D8
	v_max3_f32 v46, |v218|, |v219|, v46                        // 0000000089D8: D1D3032E 04BBB7DA
	v_max3_f32 v47, |v220|, |v221|, v47                        // 0000000089E0: D1D3032F 04BFBBDC
	v_max3_f32 v47, |v222|, |v223|, v47                        // 0000000089E8: D1D3032F 04BFBFDE
	v_max3_f32 v46, |v224|, |v225|, v46                        // 0000000089F0: D1D3032E 04BBC3E0
	v_max3_f32 v46, |v226|, |v227|, v46                        // 0000000089F8: D1D3032E 04BBC7E2
	v_max3_f32 v47, |v228|, |v229|, v47                        // 000000008A00: D1D3032F 04BFCBE4
	v_max3_f32 v47, |v230|, |v231|, v47                        // 000000008A08: D1D3032F 04BFCFE6
	v_mfma_i32_16x16x32_i8 v[232:235], a[100:101], v[172:173], v[232:235]// 000000008A10: D3D700E8 0FA35964
	v_mfma_i32_16x16x32_i8 v[232:235], a[102:103], v[174:175], v[232:235]// 000000008A18: D3D700E8 0FA35D66
	ds_write_b64 v3, v[46:47]                                  // 000000008A20: D89A0000 00002E03
	v_mfma_i32_16x16x32_i8 v[232:235], a[104:105], v[176:177], v[232:235]// 000000008A28: D3D700E8 0FA36168
	buffer_load_dwordx4 a[20:23], v37, s[24:27], 0 offen offset:1024// 000000008A30: E05C1400 80861425
	v_mfma_i32_16x16x32_i8 v[232:235], a[106:107], v[178:179], v[232:235]// 000000008A38: D3D700E8 0FA3656A
	s_waitcnt lgkmcnt(0)                                       // 000000008A40: BF8CC07F
	s_barrier                                                  // 000000008A44: BF8A0000
	v_mfma_i32_16x16x32_i8 v[232:235], a[108:109], v[180:181], v[232:235]// 000000008A48: D3D700E8 0FA3696C
	v_mfma_i32_16x16x32_i8 v[232:235], a[110:111], v[182:183], v[232:235]// 000000008A50: D3D700E8 0FA36D6E
	ds_read_b64 v[46:47], v4                                   // 000000008A58: D8EC0000 2E000004
	ds_read_b64 v[48:49], v4 offset:128                        // 000000008A60: D8EC0080 30000004
	v_cvt_f32_i32_e32 v236, v236                               // 000000008A68: 7FD80BEC
	v_cvt_f32_i32_e32 v237, v237                               // 000000008A6C: 7FDA0BED
	v_cvt_f32_i32_e32 v238, v238                               // 000000008A70: 7FDC0BEE
	v_cvt_f32_i32_e32 v239, v239                               // 000000008A74: 7FDE0BEF
	v_pk_fma_f32 v[68:69], v[236:237], v[242:243], v[68:69]    // 000000008A78: D3B04044 1D13E5EC
	v_pk_fma_f32 v[70:71], v[238:239], v[242:243], v[70:71]    // 000000008A80: D3B04046 1D1BE5EE
	v_mfma_i32_16x16x32_i8 v[236:239], a[96:97], v[184:185], 0 // 000000008A88: D3D700EC 0A037160
	buffer_load_dwordx4 a[24:27], v37, s[24:27], 0 offen offset:2048// 000000008A90: E05C1800 80861825
	v_mfma_i32_16x16x32_i8 v[236:239], a[98:99], v[186:187], v[236:239]// 000000008A98: D3D700EC 0FB37562
	ds_read_b64 v[50:51], v4 offset:256                        // 000000008AA0: D8EC0100 32000004
	ds_read_b64 v[52:53], v4 offset:384                        // 000000008AA8: D8EC0180 34000004
	v_mfma_i32_16x16x32_i8 v[236:239], a[100:101], v[188:189], v[236:239]// 000000008AB0: D3D700EC 0FB37964
	v_mfma_i32_16x16x32_i8 v[236:239], a[102:103], v[190:191], v[236:239]// 000000008AB8: D3D700EC 0FB37D66
	ds_read_b64 v[54:55], v4 offset:512                        // 000000008AC0: D8EC0200 36000004
	ds_read_b64 v[56:57], v4 offset:640                        // 000000008AC8: D8EC0280 38000004
	v_mfma_i32_16x16x32_i8 v[236:239], a[104:105], v[192:193], v[236:239]// 000000008AD0: D3D700EC 0FB38168
	buffer_load_dwordx4 a[28:31], v37, s[24:27], 0 offen offset:3072// 000000008AD8: E05C1C00 80861C25
	v_mfma_i32_16x16x32_i8 v[236:239], a[106:107], v[194:195], v[236:239]// 000000008AE0: D3D700EC 0FB3856A
	ds_read_b64 v[58:59], v4 offset:768                        // 000000008AE8: D8EC0300 3A000004
	ds_read_b64 v[60:61], v4 offset:896                        // 000000008AF0: D8EC0380 3C000004
	v_mfma_i32_16x16x32_i8 v[236:239], a[108:109], v[196:197], v[236:239]// 000000008AF8: D3D700EC 0FB3896C
	v_mfma_i32_16x16x32_i8 v[236:239], a[110:111], v[198:199], v[236:239]// 000000008B00: D3D700EC 0FB38D6E
	v_cvt_f32_i32_e32 v232, v232                               // 000000008B08: 7FD00BE8
	v_cvt_f32_i32_e32 v233, v233                               // 000000008B0C: 7FD20BE9
	v_cvt_f32_i32_e32 v234, v234                               // 000000008B10: 7FD40BEA
	v_cvt_f32_i32_e32 v235, v235                               // 000000008B14: 7FD60BEB
	v_pk_fma_f32 v[72:73], v[232:233], v[240:241], v[72:73]    // 000000008B18: D3B04048 1D23E1E8
	v_pk_fma_f32 v[74:75], v[234:235], v[240:241], v[74:75]    // 000000008B20: D3B0404A 1D2BE1EA
	s_waitcnt vmcnt(16)                                        // 000000008B28: BF8C4F70
	v_mfma_i32_16x16x32_i8 v[232:235], a[112:113], v[168:169], 0// 000000008B2C: D3D700E8 0A035170
	buffer_load_dwordx4 a[32:35], v38, s[24:27], 0 offen       // 000000008B34: E05C1000 80862026
	v_mfma_i32_16x16x32_i8 v[232:235], a[114:115], v[170:171], v[232:235]// 000000008B3C: D3D700E8 0FA35572
	s_waitcnt lgkmcnt(0)                                       // 000000008B44: BF8CC07F
	v_mov_b32_e32 v22, 0x358637bd                              // 000000008B48: 7E2C02FF 358637BD
	v_mov_b32_e32 v23, 0x358637bd                              // 000000008B50: 7E2E02FF 358637BD
	v_max3_f32 v22, |v46|, |v48|, v22                          // 000000008B58: D1D30316 045A612E
	v_max3_f32 v23, |v47|, |v49|, v23                          // 000000008B60: D1D30317 045E632F
	v_max3_f32 v22, |v50|, |v52|, v22                          // 000000008B68: D1D30316 045A6932
	v_max3_f32 v23, |v51|, |v53|, v23                          // 000000008B70: D1D30317 045E6B33
	v_max3_f32 v22, |v54|, |v56|, v22                          // 000000008B78: D1D30316 045A7136
	v_max3_f32 v23, |v55|, |v57|, v23                          // 000000008B80: D1D30317 045E7337
	v_max3_f32 v22, |v58|, |v60|, v22                          // 000000008B88: D1D30316 045A793A
	v_max3_f32 v23, |v59|, |v61|, v23                          // 000000008B90: D1D30317 045E7B3B
	v_mfma_i32_16x16x32_i8 v[232:235], a[116:117], v[172:173], v[232:235]// 000000008B98: D3D700E8 0FA35974
	v_mfma_i32_16x16x32_i8 v[232:235], a[118:119], v[174:175], v[232:235]// 000000008BA0: D3D700E8 0FA35D76
	ds_read_b64 v[46:47], v4 offset:1024                       // 000000008BA8: D8EC0400 2E000004
	ds_read_b64 v[48:49], v4 offset:1152                       // 000000008BB0: D8EC0480 30000004
	v_mfma_i32_16x16x32_i8 v[232:235], a[120:121], v[176:177], v[232:235]// 000000008BB8: D3D700E8 0FA36178
	buffer_load_dwordx4 a[36:39], v38, s[24:27], 0 offen offset:1024// 000000008BC0: E05C1400 80862426
	v_mfma_i32_16x16x32_i8 v[232:235], a[122:123], v[178:179], v[232:235]// 000000008BC8: D3D700E8 0FA3657A
	ds_read_b64 v[50:51], v4 offset:1280                       // 000000008BD0: D8EC0500 32000004
	ds_read_b64 v[52:53], v4 offset:1408                       // 000000008BD8: D8EC0580 34000004
	v_mfma_i32_16x16x32_i8 v[232:235], a[124:125], v[180:181], v[232:235]// 000000008BE0: D3D700E8 0FA3697C
	v_mfma_i32_16x16x32_i8 v[232:235], a[126:127], v[182:183], v[232:235]// 000000008BE8: D3D700E8 0FA36D7E
	ds_read_b64 v[54:55], v4 offset:1536                       // 000000008BF0: D8EC0600 36000004
	ds_read_b64 v[56:57], v4 offset:1664                       // 000000008BF8: D8EC0680 38000004
	v_cvt_f32_i32_e32 v236, v236                               // 000000008C00: 7FD80BEC
	v_cvt_f32_i32_e32 v237, v237                               // 000000008C04: 7FDA0BED
	v_cvt_f32_i32_e32 v238, v238                               // 000000008C08: 7FDC0BEE
	v_cvt_f32_i32_e32 v239, v239                               // 000000008C0C: 7FDE0BEF
	v_pk_fma_f32 v[76:77], v[236:237], v[242:243], v[76:77]    // 000000008C10: D3B0404C 1D33E5EC
	v_pk_fma_f32 v[78:79], v[238:239], v[242:243], v[78:79]    // 000000008C18: D3B0404E 1D3BE5EE
	v_mfma_i32_16x16x32_i8 v[236:239], a[112:113], v[184:185], 0// 000000008C20: D3D700EC 0A037170
	buffer_load_dwordx4 a[40:43], v38, s[24:27], 0 offen offset:2048// 000000008C28: E05C1800 80862826
	v_mfma_i32_16x16x32_i8 v[236:239], a[114:115], v[186:187], v[236:239]// 000000008C30: D3D700EC 0FB37572
	ds_read_b64 v[58:59], v4 offset:1792                       // 000000008C38: D8EC0700 3A000004
	ds_read_b64 v[60:61], v4 offset:1920                       // 000000008C40: D8EC0780 3C000004
	v_mfma_i32_16x16x32_i8 v[236:239], a[116:117], v[188:189], v[236:239]// 000000008C48: D3D700EC 0FB37974
	v_mfma_i32_16x16x32_i8 v[236:239], a[118:119], v[190:191], v[236:239]// 000000008C50: D3D700EC 0FB37D76
	v_mfma_i32_16x16x32_i8 v[236:239], a[120:121], v[192:193], v[236:239]// 000000008C58: D3D700EC 0FB38178
	buffer_load_dwordx4 a[44:47], v38, s[24:27], 0 offen offset:3072// 000000008C60: E05C1C00 80862C26
	v_mfma_i32_16x16x32_i8 v[236:239], a[122:123], v[194:195], v[236:239]// 000000008C68: D3D700EC 0FB3857A
	s_waitcnt lgkmcnt(0)                                       // 000000008C70: BF8CC07F
	v_max3_f32 v22, |v46|, |v48|, v22                          // 000000008C74: D1D30316 045A612E
	v_max3_f32 v23, |v47|, |v49|, v23                          // 000000008C7C: D1D30317 045E632F
	v_max3_f32 v22, |v50|, |v52|, v22                          // 000000008C84: D1D30316 045A6932
	v_max3_f32 v23, |v51|, |v53|, v23                          // 000000008C8C: D1D30317 045E6B33
	v_max3_f32 v22, |v54|, |v56|, v22                          // 000000008C94: D1D30316 045A7136
	v_max3_f32 v23, |v55|, |v57|, v23                          // 000000008C9C: D1D30317 045E7337
	v_max3_f32 v22, |v58|, |v60|, v22                          // 000000008CA4: D1D30316 045A793A
	v_max3_f32 v23, |v59|, |v61|, v23                          // 000000008CAC: D1D30317 045E7B3B
	v_mov_b32_e32 v42, 0x42fe0000                              // 000000008CB4: 7E5402FF 42FE0000
	v_rcp_f32_e32 v22, v22                                     // 000000008CBC: 7E2C4516
	v_rcp_f32_e32 v23, v23                                     // 000000008CC0: 7E2E4517
	s_nop 1                                                    // 000000008CC4: BF800001
	v_mul_f32_e32 v22, v42, v22                                // 000000008CC8: 0A2C2D2A
	v_mul_f32_e32 v23, v42, v23                                // 000000008CCC: 0A2E2F2A
	v_rcp_f32_e32 v26, v22                                     // 000000008CD0: 7E344516
	v_rcp_f32_e32 v27, v23                                     // 000000008CD4: 7E364517
	v_mov_b32_e32 v42, v22                                     // 000000008CD8: 7E540316
	v_mov_b32_e32 v43, v22                                     // 000000008CDC: 7E560316
	v_mov_b32_e32 v44, v23                                     // 000000008CE0: 7E580317
	v_mov_b32_e32 v45, v23                                     // 000000008CE4: 7E5A0317
	v_pk_mul_f32 v[200:201], v[42:43], v[200:201]              // 000000008CE8: D3B140C8 1803912A
	v_pk_mul_f32 v[202:203], v[42:43], v[202:203]              // 000000008CF0: D3B140CA 1803952A
	v_cvt_i32_f32_e32 v200, v200                               // 000000008CF8: 7F9011C8
	v_cvt_i32_f32_e32 v201, v201                               // 000000008CFC: 7F9211C9
	v_cvt_i32_f32_e32 v202, v202                               // 000000008D00: 7F9411CA
	v_cvt_i32_f32_e32 v203, v203                               // 000000008D04: 7F9611CB
	v_perm_b32 v200, v201, v200, s53                           // 000000008D08: D1ED00C8 00D791C9
	v_perm_b32 v200, v202, v200, s54                           // 000000008D10: D1ED00C8 00DB91CA
	v_perm_b32 v200, v203, v200, s55                           // 000000008D18: D1ED00C8 00DF91CB
	v_pk_mul_f32 v[204:205], v[44:45], v[204:205]              // 000000008D20: D3B140CC 1803992C
	v_pk_mul_f32 v[206:207], v[44:45], v[206:207]              // 000000008D28: D3B140CE 18039D2C
	v_cvt_i32_f32_e32 v204, v204                               // 000000008D30: 7F9811CC
	v_cvt_i32_f32_e32 v205, v205                               // 000000008D34: 7F9A11CD
	v_cvt_i32_f32_e32 v206, v206                               // 000000008D38: 7F9C11CE
	v_cvt_i32_f32_e32 v207, v207                               // 000000008D3C: 7F9E11CF
	v_perm_b32 v201, v205, v204, s53                           // 000000008D40: D1ED00C9 00D799CD
	v_perm_b32 v201, v206, v201, s54                           // 000000008D48: D1ED00C9 00DB93CE
	v_perm_b32 v201, v207, v201, s55                           // 000000008D50: D1ED00C9 00DF93CF
	v_pk_mul_f32 v[208:209], v[42:43], v[208:209]              // 000000008D58: D3B140D0 1803A12A
	v_pk_mul_f32 v[210:211], v[42:43], v[210:211]              // 000000008D60: D3B140D2 1803A52A
	v_cvt_i32_f32_e32 v208, v208                               // 000000008D68: 7FA011D0
	v_cvt_i32_f32_e32 v209, v209                               // 000000008D6C: 7FA211D1
	v_cvt_i32_f32_e32 v210, v210                               // 000000008D70: 7FA411D2
	v_cvt_i32_f32_e32 v211, v211                               // 000000008D74: 7FA611D3
	v_perm_b32 v202, v209, v208, s53                           // 000000008D78: D1ED00CA 00D7A1D1
	v_perm_b32 v202, v210, v202, s54                           // 000000008D80: D1ED00CA 00DB95D2
	v_perm_b32 v202, v211, v202, s55                           // 000000008D88: D1ED00CA 00DF95D3
	v_pk_mul_f32 v[212:213], v[44:45], v[212:213]              // 000000008D90: D3B140D4 1803A92C
	v_pk_mul_f32 v[214:215], v[44:45], v[214:215]              // 000000008D98: D3B140D6 1803AD2C
	v_cvt_i32_f32_e32 v212, v212                               // 000000008DA0: 7FA811D4
	v_cvt_i32_f32_e32 v213, v213                               // 000000008DA4: 7FAA11D5
	v_cvt_i32_f32_e32 v214, v214                               // 000000008DA8: 7FAC11D6
	v_cvt_i32_f32_e32 v215, v215                               // 000000008DAC: 7FAE11D7
	v_perm_b32 v203, v213, v212, s53                           // 000000008DB0: D1ED00CB 00D7A9D5
	v_perm_b32 v203, v214, v203, s54                           // 000000008DB8: D1ED00CB 00DB97D6
	v_perm_b32 v203, v215, v203, s55                           // 000000008DC0: D1ED00CB 00DF97D7
	v_pk_mul_f32 v[216:217], v[42:43], v[216:217]              // 000000008DC8: D3B140D8 1803B12A
	v_pk_mul_f32 v[218:219], v[42:43], v[218:219]              // 000000008DD0: D3B140DA 1803B52A
	v_cvt_i32_f32_e32 v216, v216                               // 000000008DD8: 7FB011D8
	v_cvt_i32_f32_e32 v217, v217                               // 000000008DDC: 7FB211D9
	v_cvt_i32_f32_e32 v218, v218                               // 000000008DE0: 7FB411DA
	v_cvt_i32_f32_e32 v219, v219                               // 000000008DE4: 7FB611DB
	v_perm_b32 v204, v217, v216, s53                           // 000000008DE8: D1ED00CC 00D7B1D9
	v_perm_b32 v204, v218, v204, s54                           // 000000008DF0: D1ED00CC 00DB99DA
	v_perm_b32 v204, v219, v204, s55                           // 000000008DF8: D1ED00CC 00DF99DB
	v_pk_mul_f32 v[220:221], v[44:45], v[220:221]              // 000000008E00: D3B140DC 1803B92C
	v_pk_mul_f32 v[222:223], v[44:45], v[222:223]              // 000000008E08: D3B140DE 1803BD2C
	v_cvt_i32_f32_e32 v220, v220                               // 000000008E10: 7FB811DC
	v_cvt_i32_f32_e32 v221, v221                               // 000000008E14: 7FBA11DD
	v_cvt_i32_f32_e32 v222, v222                               // 000000008E18: 7FBC11DE
	v_cvt_i32_f32_e32 v223, v223                               // 000000008E1C: 7FBE11DF
	v_perm_b32 v205, v221, v220, s53                           // 000000008E20: D1ED00CD 00D7B9DD
	v_perm_b32 v205, v222, v205, s54                           // 000000008E28: D1ED00CD 00DB9BDE
	v_perm_b32 v205, v223, v205, s55                           // 000000008E30: D1ED00CD 00DF9BDF
	v_pk_mul_f32 v[224:225], v[42:43], v[224:225]              // 000000008E38: D3B140E0 1803C12A
	v_pk_mul_f32 v[226:227], v[42:43], v[226:227]              // 000000008E40: D3B140E2 1803C52A
	v_cvt_i32_f32_e32 v224, v224                               // 000000008E48: 7FC011E0
	v_cvt_i32_f32_e32 v225, v225                               // 000000008E4C: 7FC211E1
	v_cvt_i32_f32_e32 v226, v226                               // 000000008E50: 7FC411E2
	v_cvt_i32_f32_e32 v227, v227                               // 000000008E54: 7FC611E3
	v_perm_b32 v206, v225, v224, s53                           // 000000008E58: D1ED00CE 00D7C1E1
	v_perm_b32 v206, v226, v206, s54                           // 000000008E60: D1ED00CE 00DB9DE2
	v_perm_b32 v206, v227, v206, s55                           // 000000008E68: D1ED00CE 00DF9DE3
	v_pk_mul_f32 v[228:229], v[44:45], v[228:229]              // 000000008E70: D3B140E4 1803C92C
	v_pk_mul_f32 v[230:231], v[44:45], v[230:231]              // 000000008E78: D3B140E6 1803CD2C
	v_cvt_i32_f32_e32 v228, v228                               // 000000008E80: 7FC811E4
	v_cvt_i32_f32_e32 v229, v229                               // 000000008E84: 7FCA11E5
	v_cvt_i32_f32_e32 v230, v230                               // 000000008E88: 7FCC11E6
	v_cvt_i32_f32_e32 v231, v231                               // 000000008E8C: 7FCE11E7
	v_perm_b32 v207, v229, v228, s53                           // 000000008E90: D1ED00CF 00D7C9E5
	v_perm_b32 v207, v230, v207, s54                           // 000000008E98: D1ED00CF 00DB9FE6
	v_perm_b32 v207, v231, v207, s55                           // 000000008EA0: D1ED00CF 00DF9FE7
	v_mfma_i32_16x16x32_i8 v[236:239], a[124:125], v[196:197], v[236:239]// 000000008EA8: D3D700EC 0FB3897C
	v_mfma_i32_16x16x32_i8 v[236:239], a[126:127], v[198:199], v[236:239]// 000000008EB0: D3D700EC 0FB38D7E
	ds_write_b32 v12, v200 offset:2048                         // 000000008EB8: D81A0800 0000C80C
	ds_write_b32 v12, v201 offset:6144                         // 000000008EC0: D81A1800 0000C90C
	v_cvt_f32_i32_e32 v232, v232                               // 000000008EC8: 7FD00BE8
	v_cvt_f32_i32_e32 v233, v233                               // 000000008ECC: 7FD20BE9
	v_cvt_f32_i32_e32 v234, v234                               // 000000008ED0: 7FD40BEA
	v_cvt_f32_i32_e32 v235, v235                               // 000000008ED4: 7FD60BEB
	v_pk_fma_f32 v[80:81], v[232:233], v[240:241], v[80:81]    // 000000008ED8: D3B04050 1D43E1E8
	v_pk_fma_f32 v[82:83], v[234:235], v[240:241], v[82:83]    // 000000008EE0: D3B04052 1D4BE1EA
	s_waitcnt vmcnt(16)                                        // 000000008EE8: BF8C4F70
	v_mfma_i32_16x16x32_i8 v[232:235], a[128:129], v[168:169], 0// 000000008EEC: D3D700E8 0A035180
	buffer_load_dwordx4 a[48:51], v39, s[24:27], 0 offen       // 000000008EF4: E05C1000 80863027
	v_mfma_i32_16x16x32_i8 v[232:235], a[130:131], v[170:171], v[232:235]// 000000008EFC: D3D700E8 0FA35582
	ds_write_b32 v12, v202 offset:3072                         // 000000008F04: D81A0C00 0000CA0C
	ds_write_b32 v12, v203 offset:7168                         // 000000008F0C: D81A1C00 0000CB0C
	v_mfma_i32_16x16x32_i8 v[232:235], a[132:133], v[172:173], v[232:235]// 000000008F14: D3D700E8 0FA35984
	v_mfma_i32_16x16x32_i8 v[232:235], a[134:135], v[174:175], v[232:235]// 000000008F1C: D3D700E8 0FA35D86
	ds_write_b32 v12, v204 offset:4096                         // 000000008F24: D81A1000 0000CC0C
	ds_write_b32 v12, v205 offset:8192                         // 000000008F2C: D81A2000 0000CD0C
	v_mfma_i32_16x16x32_i8 v[232:235], a[136:137], v[176:177], v[232:235]// 000000008F34: D3D700E8 0FA36188
	buffer_load_dwordx4 a[52:55], v39, s[24:27], 0 offen offset:1024// 000000008F3C: E05C1400 80863427
	v_mfma_i32_16x16x32_i8 v[232:235], a[138:139], v[178:179], v[232:235]// 000000008F44: D3D700E8 0FA3658A
	ds_write_b32 v12, v206 offset:5120                         // 000000008F4C: D81A1400 0000CE0C
	ds_write_b32 v12, v207 offset:9216                         // 000000008F54: D81A2400 0000CF0C
	v_mfma_i32_16x16x32_i8 v[232:235], a[140:141], v[180:181], v[232:235]// 000000008F5C: D3D700E8 0FA3698C
	v_mfma_i32_16x16x32_i8 v[232:235], a[142:143], v[182:183], v[232:235]// 000000008F64: D3D700E8 0FA36D8E
	v_cvt_f32_i32_e32 v236, v236                               // 000000008F6C: 7FD80BEC
	v_cvt_f32_i32_e32 v237, v237                               // 000000008F70: 7FDA0BED
	v_cvt_f32_i32_e32 v238, v238                               // 000000008F74: 7FDC0BEE
	v_cvt_f32_i32_e32 v239, v239                               // 000000008F78: 7FDE0BEF
	v_pk_fma_f32 v[84:85], v[236:237], v[242:243], v[84:85]    // 000000008F7C: D3B04054 1D53E5EC
	v_pk_fma_f32 v[86:87], v[238:239], v[242:243], v[86:87]    // 000000008F84: D3B04056 1D5BE5EE
	v_mfma_i32_16x16x32_i8 v[236:239], a[128:129], v[184:185], 0// 000000008F8C: D3D700EC 0A037180
	buffer_load_dwordx4 a[56:59], v39, s[24:27], 0 offen offset:2048// 000000008F94: E05C1800 80863827
	v_mfma_i32_16x16x32_i8 v[236:239], a[130:131], v[186:187], v[236:239]// 000000008F9C: D3D700EC 0FB37582
	v_mfma_i32_16x16x32_i8 v[236:239], a[132:133], v[188:189], v[236:239]// 000000008FA4: D3D700EC 0FB37984
	v_mfma_i32_16x16x32_i8 v[236:239], a[134:135], v[190:191], v[236:239]// 000000008FAC: D3D700EC 0FB37D86
	s_waitcnt lgkmcnt(0)                                       // 000000008FB4: BF8CC07F
	s_barrier                                                  // 000000008FB8: BF8A0000
	v_mfma_i32_16x16x32_i8 v[236:239], a[136:137], v[192:193], v[236:239]// 000000008FBC: D3D700EC 0FB38188
	buffer_load_dwordx4 a[60:63], v39, s[24:27], 0 offen offset:3072// 000000008FC4: E05C1C00 80863C27
	v_mfma_i32_16x16x32_i8 v[236:239], a[138:139], v[194:195], v[236:239]// 000000008FCC: D3D700EC 0FB3858A
	ds_read_b64 v[200:201], v13 offset:2048                    // 000000008FD4: D8EC0800 C800000D
	ds_read_b64 v[202:203], v13 offset:2176                    // 000000008FDC: D8EC0880 CA00000D
	v_mfma_i32_16x16x32_i8 v[236:239], a[140:141], v[196:197], v[236:239]// 000000008FE4: D3D700EC 0FB3898C
	v_mfma_i32_16x16x32_i8 v[236:239], a[142:143], v[198:199], v[236:239]// 000000008FEC: D3D700EC 0FB38D8E
	ds_read_b64 v[204:205], v13 offset:3072                    // 000000008FF4: D8EC0C00 CC00000D
	ds_read_b64 v[206:207], v13 offset:3200                    // 000000008FFC: D8EC0C80 CE00000D
	v_cvt_f32_i32_e32 v232, v232                               // 000000009004: 7FD00BE8
	v_cvt_f32_i32_e32 v233, v233                               // 000000009008: 7FD20BE9
	v_cvt_f32_i32_e32 v234, v234                               // 00000000900C: 7FD40BEA
	v_cvt_f32_i32_e32 v235, v235                               // 000000009010: 7FD60BEB
	v_pk_fma_f32 v[88:89], v[232:233], v[240:241], v[88:89]    // 000000009014: D3B04058 1D63E1E8
	v_pk_fma_f32 v[90:91], v[234:235], v[240:241], v[90:91]    // 00000000901C: D3B0405A 1D6BE1EA
	s_waitcnt vmcnt(16)                                        // 000000009024: BF8C4F70
	v_mfma_i32_16x16x32_i8 v[232:235], a[144:145], v[168:169], 0// 000000009028: D3D700E8 0A035190
	buffer_load_dwordx4 a[64:67], v40, s[24:27], 0 offen       // 000000009030: E05C1000 80864028
	v_mfma_i32_16x16x32_i8 v[232:235], a[146:147], v[170:171], v[232:235]// 000000009038: D3D700E8 0FA35592
	ds_read_b64 v[208:209], v13 offset:4096                    // 000000009040: D8EC1000 D000000D
	ds_read_b64 v[210:211], v13 offset:4224                    // 000000009048: D8EC1080 D200000D
	v_mfma_i32_16x16x32_i8 v[232:235], a[148:149], v[172:173], v[232:235]// 000000009050: D3D700E8 0FA35994
	v_mfma_i32_16x16x32_i8 v[232:235], a[150:151], v[174:175], v[232:235]// 000000009058: D3D700E8 0FA35D96
	ds_read_b64 v[212:213], v13 offset:5120                    // 000000009060: D8EC1400 D400000D
	ds_read_b64 v[214:215], v13 offset:5248                    // 000000009068: D8EC1480 D600000D
	v_mfma_i32_16x16x32_i8 v[232:235], a[152:153], v[176:177], v[232:235]// 000000009070: D3D700E8 0FA36198
	buffer_load_dwordx4 a[68:71], v40, s[24:27], 0 offen offset:1024// 000000009078: E05C1400 80864428
	v_mfma_i32_16x16x32_i8 v[232:235], a[154:155], v[178:179], v[232:235]// 000000009080: D3D700E8 0FA3659A
	ds_read_b64 v[216:217], v13 offset:6144                    // 000000009088: D8EC1800 D800000D
	ds_read_b64 v[218:219], v13 offset:6272                    // 000000009090: D8EC1880 DA00000D
	v_mfma_i32_16x16x32_i8 v[232:235], a[156:157], v[180:181], v[232:235]// 000000009098: D3D700E8 0FA3699C
	v_mfma_i32_16x16x32_i8 v[232:235], a[158:159], v[182:183], v[232:235]// 0000000090A0: D3D700E8 0FA36D9E
	ds_read_b64 v[220:221], v13 offset:7168                    // 0000000090A8: D8EC1C00 DC00000D
	ds_read_b64 v[222:223], v13 offset:7296                    // 0000000090B0: D8EC1C80 DE00000D
	v_cvt_f32_i32_e32 v236, v236                               // 0000000090B8: 7FD80BEC
	v_cvt_f32_i32_e32 v237, v237                               // 0000000090BC: 7FDA0BED
	v_cvt_f32_i32_e32 v238, v238                               // 0000000090C0: 7FDC0BEE
	v_cvt_f32_i32_e32 v239, v239                               // 0000000090C4: 7FDE0BEF
	v_pk_fma_f32 v[92:93], v[236:237], v[242:243], v[92:93]    // 0000000090C8: D3B0405C 1D73E5EC
	v_pk_fma_f32 v[94:95], v[238:239], v[242:243], v[94:95]    // 0000000090D0: D3B0405E 1D7BE5EE
	v_mfma_i32_16x16x32_i8 v[236:239], a[144:145], v[184:185], 0// 0000000090D8: D3D700EC 0A037190
	buffer_load_dwordx4 a[72:75], v40, s[24:27], 0 offen offset:2048// 0000000090E0: E05C1800 80864828
	v_mfma_i32_16x16x32_i8 v[236:239], a[146:147], v[186:187], v[236:239]// 0000000090E8: D3D700EC 0FB37592
	ds_read_b64 v[224:225], v13 offset:8192                    // 0000000090F0: D8EC2000 E000000D
	ds_read_b64 v[226:227], v13 offset:8320                    // 0000000090F8: D8EC2080 E200000D
	v_mfma_i32_16x16x32_i8 v[236:239], a[148:149], v[188:189], v[236:239]// 000000009100: D3D700EC 0FB37994
	v_mfma_i32_16x16x32_i8 v[236:239], a[150:151], v[190:191], v[236:239]// 000000009108: D3D700EC 0FB37D96
	ds_read_b64 v[228:229], v13 offset:9216                    // 000000009110: D8EC2400 E400000D
	ds_read_b64 v[230:231], v13 offset:9344                    // 000000009118: D8EC2480 E600000D
	v_mfma_i32_16x16x32_i8 v[236:239], a[152:153], v[192:193], v[236:239]// 000000009120: D3D700EC 0FB38198
	buffer_load_dwordx4 a[76:79], v40, s[24:27], 0 offen offset:3072// 000000009128: E05C1C00 80864C28
	v_mfma_i32_16x16x32_i8 v[236:239], a[154:155], v[194:195], v[236:239]// 000000009130: D3D700EC 0FB3859A
	v_mfma_i32_16x16x32_i8 v[236:239], a[156:157], v[196:197], v[236:239]// 000000009138: D3D700EC 0FB3899C
	v_mfma_i32_16x16x32_i8 v[236:239], a[158:159], v[198:199], v[236:239]// 000000009140: D3D700EC 0FB38D9E
	v_cvt_f32_i32_e32 v232, v232                               // 000000009148: 7FD00BE8
	v_cvt_f32_i32_e32 v233, v233                               // 00000000914C: 7FD20BE9
	v_cvt_f32_i32_e32 v234, v234                               // 000000009150: 7FD40BEA
	v_cvt_f32_i32_e32 v235, v235                               // 000000009154: 7FD60BEB
	v_pk_fma_f32 v[96:97], v[232:233], v[240:241], v[96:97]    // 000000009158: D3B04060 1D83E1E8
	v_pk_fma_f32 v[98:99], v[234:235], v[240:241], v[98:99]    // 000000009160: D3B04062 1D8BE1EA
	v_cvt_f32_i32_e32 v236, v236                               // 000000009168: 7FD80BEC
	v_cvt_f32_i32_e32 v237, v237                               // 00000000916C: 7FDA0BED
	v_cvt_f32_i32_e32 v238, v238                               // 000000009170: 7FDC0BEE
	v_cvt_f32_i32_e32 v239, v239                               // 000000009174: 7FDE0BEF
	v_pk_fma_f32 v[100:101], v[236:237], v[242:243], v[100:101]// 000000009178: D3B04064 1D93E5EC
	v_pk_fma_f32 v[102:103], v[238:239], v[242:243], v[102:103]// 000000009180: D3B04066 1D9BE5EE
	s_add_u32 s60, 0x200, s80                                  // 000000009188: 803C50FF 00000200
	s_cmp_lt_u32 s60, s81                                      // 000000009190: BF0A513C
	s_cselect_b32 s57, s57, 0                                  // 000000009194: 85398039
	s_cselect_b32 s91, s91, 0                                  // 000000009198: 855B805B
	s_add_u32 s60, 0x200, s80                                  // 00000000919C: 803C50FF 00000200
	s_cmp_lt_u32 s60, s81                                      // 0000000091A4: BF0A513C
	s_cselect_b32 s58, s58, 0                                  // 0000000091A8: 853A803A
	s_add_u32 s20, s57, s20                                    // 0000000091AC: 80141439
	s_addc_u32 s21, 0, s21                                     // 0000000091B0: 82151580
	s_add_u32 s28, s91, s28                                    // 0000000091B4: 801C1C5B
	s_addc_u32 s29, 0, s29                                     // 0000000091B8: 821D1D80
	s_add_u32 s24, s58, s24                                    // 0000000091BC: 8018183A
	s_addc_u32 s25, 0, s25                                     // 0000000091C0: 82191980
	s_add_u32 s92, s90, s92                                    // 0000000091C4: 805C5C5A
	s_addc_u32 s93, 0, s93                                     // 0000000091C8: 825D5D80
	s_addk_i32 s80, 0x100                                      // 0000000091CC: B7500100
	s_cmp_lt_i32 s80, s81                                      // 0000000091D0: BF045150
	s_cbranch_scc0 label_1D19                                  // 0000000091D4: BF840423
	v_mov_b32_e32 v240, v26                                    // 0000000091D8: 7FE0031A
	v_mov_b32_e32 v242, v27                                    // 0000000091DC: 7FE4031B
	v_mov_b32_e32 v241, v240                                   // 0000000091E0: 7FE203F0
	v_mov_b32_e32 v243, v242                                   // 0000000091E4: 7FE603F2
	s_waitcnt vmcnt(12) lgkmcnt(0)                             // 0000000091E8: BF8C007C
	s_barrier                                                  // 0000000091EC: BF8A0000
	v_mfma_i32_16x16x32_i8 v[232:235], a[0:1], v[200:201], 0   // 0000000091F0: D3D700E8 0A039100
	buffer_load_dwordx4 a[80:83], v36, s[92:95], 0 offen       // 0000000091F8: E05C1000 80975024
	v_mfma_i32_16x16x32_i8 v[232:235], a[2:3], v[202:203], v[232:235]// 000000009200: D3D700E8 0FA39502
	v_mfma_i32_16x16x32_i8 v[232:235], a[4:5], v[204:205], v[232:235]// 000000009208: D3D700E8 0FA39904
	buffer_load_dword v28, s[20:23], 0 offen lds               // 000000009210: E0511000 8005001C
	buffer_load_dword v28, s[20:23], 0 offen offset:256 lds    // 000000009218: E0511100 8005001C
	s_add_u32 m0, 0x820, s50                                   // 000000009220: 807C32FF 00000820
	v_mfma_i32_16x16x32_i8 v[232:235], a[6:7], v[206:207], v[232:235]// 000000009228: D3D700E8 0FA39D06
	v_mfma_i32_16x16x32_i8 v[232:235], a[8:9], v[208:209], v[232:235]// 000000009230: D3D700E8 0FA3A108
	buffer_load_dwordx4 a[84:87], v36, s[92:95], 0 offen offset:1024// 000000009238: E05C1400 80975424
	v_mfma_i32_16x16x32_i8 v[232:235], a[10:11], v[210:211], v[232:235]// 000000009240: D3D700E8 0FA3A50A
	v_mfma_i32_16x16x32_i8 v[232:235], a[12:13], v[212:213], v[232:235]// 000000009248: D3D700E8 0FA3A90C
	buffer_load_dword v29, s[20:23], 0 offen lds               // 000000009250: E0511000 8005001D
	buffer_load_dword v29, s[20:23], 0 offen offset:256 lds    // 000000009258: E0511100 8005001D
	s_add_u32 m0, 0x1040, s50                                  // 000000009260: 807C32FF 00001040
	v_mfma_i32_16x16x32_i8 v[232:235], a[14:15], v[214:215], v[232:235]// 000000009268: D3D700E8 0FA3AD0E
	v_mfma_i32_16x16x32_i8 v[236:239], a[0:1], v[216:217], 0   // 000000009270: D3D700EC 0A03B100
	buffer_load_dwordx4 a[88:91], v36, s[92:95], 0 offen offset:2048// 000000009278: E05C1800 80975824
	v_mfma_i32_16x16x32_i8 v[236:239], a[2:3], v[218:219], v[236:239]// 000000009280: D3D700EC 0FB3B502
	v_mfma_i32_16x16x32_i8 v[236:239], a[4:5], v[220:221], v[236:239]// 000000009288: D3D700EC 0FB3B904
	buffer_load_dword v30, s[20:23], 0 offen lds               // 000000009290: E0511000 8005001E
	buffer_load_dword v30, s[20:23], 0 offen offset:256 lds    // 000000009298: E0511100 8005001E
	s_add_u32 m0, 0x1860, s50                                  // 0000000092A0: 807C32FF 00001860
	v_mfma_i32_16x16x32_i8 v[236:239], a[6:7], v[222:223], v[236:239]// 0000000092A8: D3D700EC 0FB3BD06
	v_mfma_i32_16x16x32_i8 v[236:239], a[8:9], v[224:225], v[236:239]// 0000000092B0: D3D700EC 0FB3C108
	buffer_load_dwordx4 a[92:95], v36, s[92:95], 0 offen offset:3072// 0000000092B8: E05C1C00 80975C24
	v_mfma_i32_16x16x32_i8 v[236:239], a[10:11], v[226:227], v[236:239]// 0000000092C0: D3D700EC 0FB3C50A
	v_mfma_i32_16x16x32_i8 v[236:239], a[12:13], v[228:229], v[236:239]// 0000000092C8: D3D700EC 0FB3C90C
	buffer_load_dword v31, s[20:23], 0 offen lds               // 0000000092D0: E0511000 8005001F
	buffer_load_dword v31, s[20:23], 0 offen offset:256 lds    // 0000000092D8: E0511100 8005001F
	s_add_u32 m0, 0x2080, s50                                  // 0000000092E0: 807C32FF 00002080
	v_mfma_i32_16x16x32_i8 v[236:239], a[14:15], v[230:231], v[236:239]// 0000000092E8: D3D700EC 0FB3CD0E
	v_cvt_f32_i32_e32 v232, v232                               // 0000000092F0: 7FD00BE8
	v_cvt_f32_i32_e32 v233, v233                               // 0000000092F4: 7FD20BE9
	v_cvt_f32_i32_e32 v234, v234                               // 0000000092F8: 7FD40BEA
	v_cvt_f32_i32_e32 v235, v235                               // 0000000092FC: 7FD60BEB
	v_pk_fma_f32 v[128:129], v[232:233], v[240:241], v[128:129]// 000000009300: D3B04080 1E03E1E8
	v_pk_fma_f32 v[130:131], v[234:235], v[240:241], v[130:131]// 000000009308: D3B04082 1E0BE1EA
	v_mfma_i32_16x16x32_i8 v[232:235], a[16:17], v[200:201], 0 // 000000009310: D3D700E8 0A039110
	buffer_load_dwordx4 a[96:99], v37, s[92:95], 0 offen       // 000000009318: E05C1000 80976025
	v_mfma_i32_16x16x32_i8 v[232:235], a[18:19], v[202:203], v[232:235]// 000000009320: D3D700E8 0FA39512
	v_mfma_i32_16x16x32_i8 v[232:235], a[20:21], v[204:205], v[232:235]// 000000009328: D3D700E8 0FA39914
	buffer_load_dword v32, s[20:23], 0 offen lds               // 000000009330: E0511000 80050020
	buffer_load_dword v32, s[20:23], 0 offen offset:256 lds    // 000000009338: E0511100 80050020
	s_add_u32 m0, 0x28a0, s50                                  // 000000009340: 807C32FF 000028A0
	v_mfma_i32_16x16x32_i8 v[232:235], a[22:23], v[206:207], v[232:235]// 000000009348: D3D700E8 0FA39D16
	v_mfma_i32_16x16x32_i8 v[232:235], a[24:25], v[208:209], v[232:235]// 000000009350: D3D700E8 0FA3A118
	buffer_load_dwordx4 a[100:103], v37, s[92:95], 0 offen offset:1024// 000000009358: E05C1400 80976425
	v_mfma_i32_16x16x32_i8 v[232:235], a[26:27], v[210:211], v[232:235]// 000000009360: D3D700E8 0FA3A51A
	v_mfma_i32_16x16x32_i8 v[232:235], a[28:29], v[212:213], v[232:235]// 000000009368: D3D700E8 0FA3A91C
	buffer_load_dword v33, s[20:23], 0 offen lds               // 000000009370: E0511000 80050021
	buffer_load_dword v33, s[20:23], 0 offen offset:256 lds    // 000000009378: E0511100 80050021
	s_add_u32 m0, 0x30c0, s50                                  // 000000009380: 807C32FF 000030C0
	v_mfma_i32_16x16x32_i8 v[232:235], a[30:31], v[214:215], v[232:235]// 000000009388: D3D700E8 0FA3AD1E
	v_cvt_f32_i32_e32 v236, v236                               // 000000009390: 7FD80BEC
	v_cvt_f32_i32_e32 v237, v237                               // 000000009394: 7FDA0BED
	v_cvt_f32_i32_e32 v238, v238                               // 000000009398: 7FDC0BEE
	v_cvt_f32_i32_e32 v239, v239                               // 00000000939C: 7FDE0BEF
	v_pk_fma_f32 v[132:133], v[236:237], v[242:243], v[132:133]// 0000000093A0: D3B04084 1E13E5EC
	v_pk_fma_f32 v[134:135], v[238:239], v[242:243], v[134:135]// 0000000093A8: D3B04086 1E1BE5EE
	v_mfma_i32_16x16x32_i8 v[236:239], a[16:17], v[216:217], 0 // 0000000093B0: D3D700EC 0A03B110
	buffer_load_dwordx4 a[104:107], v37, s[92:95], 0 offen offset:2048// 0000000093B8: E05C1800 80976825
	v_mfma_i32_16x16x32_i8 v[236:239], a[18:19], v[218:219], v[236:239]// 0000000093C0: D3D700EC 0FB3B512
	v_mfma_i32_16x16x32_i8 v[236:239], a[20:21], v[220:221], v[236:239]// 0000000093C8: D3D700EC 0FB3B914
	buffer_load_dword v34, s[20:23], 0 offen lds               // 0000000093D0: E0511000 80050022
	buffer_load_dword v34, s[20:23], 0 offen offset:256 lds    // 0000000093D8: E0511100 80050022
	s_add_u32 m0, 0x38e0, s50                                  // 0000000093E0: 807C32FF 000038E0
	v_mfma_i32_16x16x32_i8 v[236:239], a[22:23], v[222:223], v[236:239]// 0000000093E8: D3D700EC 0FB3BD16
	v_mfma_i32_16x16x32_i8 v[236:239], a[24:25], v[224:225], v[236:239]// 0000000093F0: D3D700EC 0FB3C118
	buffer_load_dwordx4 a[108:111], v37, s[92:95], 0 offen offset:3072// 0000000093F8: E05C1C00 80976C25
	v_mfma_i32_16x16x32_i8 v[236:239], a[26:27], v[226:227], v[236:239]// 000000009400: D3D700EC 0FB3C51A
	v_mfma_i32_16x16x32_i8 v[236:239], a[28:29], v[228:229], v[236:239]// 000000009408: D3D700EC 0FB3C91C
	buffer_load_dword v35, s[20:23], 0 offen lds               // 000000009410: E0511000 80050023
	buffer_load_dword v35, s[20:23], 0 offen offset:256 lds    // 000000009418: E0511100 80050023
	s_add_u32 m0, 0, s51                                       // 000000009420: 807C3380
	v_mfma_i32_16x16x32_i8 v[236:239], a[30:31], v[230:231], v[236:239]// 000000009424: D3D700EC 0FB3CD1E
	buffer_load_dword v14, v6, s[28:31], 0 offen               // 00000000942C: E0501000 80070E06
	v_cvt_f32_i32_e32 v232, v232                               // 000000009434: 7FD00BE8
	v_cvt_f32_i32_e32 v233, v233                               // 000000009438: 7FD20BE9
	v_cvt_f32_i32_e32 v234, v234                               // 00000000943C: 7FD40BEA
	v_cvt_f32_i32_e32 v235, v235                               // 000000009440: 7FD60BEB
	v_pk_fma_f32 v[136:137], v[232:233], v[240:241], v[136:137]// 000000009444: D3B04088 1E23E1E8
	v_pk_fma_f32 v[138:139], v[234:235], v[240:241], v[138:139]// 00000000944C: D3B0408A 1E2BE1EA
	s_waitcnt vmcnt(33)                                        // 000000009454: BF8C8F71
	v_mfma_i32_16x16x32_i8 v[232:235], a[32:33], v[200:201], 0 // 000000009458: D3D700E8 0A039120
	buffer_load_dwordx4 a[112:115], v38, s[92:95], 0 offen     // 000000009460: E05C1000 80977026
	v_mfma_i32_16x16x32_i8 v[232:235], a[34:35], v[202:203], v[232:235]// 000000009468: D3D700E8 0FA39522
	v_mfma_i32_16x16x32_i8 v[232:235], a[36:37], v[204:205], v[232:235]// 000000009470: D3D700E8 0FA39924
	v_mfma_i32_16x16x32_i8 v[232:235], a[38:39], v[206:207], v[232:235]// 000000009478: D3D700E8 0FA39D26
	v_mfma_i32_16x16x32_i8 v[232:235], a[40:41], v[208:209], v[232:235]// 000000009480: D3D700E8 0FA3A128
	buffer_load_dwordx4 a[116:119], v38, s[92:95], 0 offen offset:1024// 000000009488: E05C1400 80977426
	v_mfma_i32_16x16x32_i8 v[232:235], a[42:43], v[210:211], v[232:235]// 000000009490: D3D700E8 0FA3A52A
	v_mfma_i32_16x16x32_i8 v[232:235], a[44:45], v[212:213], v[232:235]// 000000009498: D3D700E8 0FA3A92C
	v_mfma_i32_16x16x32_i8 v[232:235], a[46:47], v[214:215], v[232:235]// 0000000094A0: D3D700E8 0FA3AD2E
	v_cvt_f32_i32_e32 v236, v236                               // 0000000094A8: 7FD80BEC
	v_cvt_f32_i32_e32 v237, v237                               // 0000000094AC: 7FDA0BED
	v_cvt_f32_i32_e32 v238, v238                               // 0000000094B0: 7FDC0BEE
	v_cvt_f32_i32_e32 v239, v239                               // 0000000094B4: 7FDE0BEF
	v_pk_fma_f32 v[140:141], v[236:237], v[242:243], v[140:141]// 0000000094B8: D3B0408C 1E33E5EC
	v_pk_fma_f32 v[142:143], v[238:239], v[242:243], v[142:143]// 0000000094C0: D3B0408E 1E3BE5EE
	v_mfma_i32_16x16x32_i8 v[236:239], a[32:33], v[216:217], 0 // 0000000094C8: D3D700EC 0A03B120
	buffer_load_dwordx4 a[120:123], v38, s[92:95], 0 offen offset:2048// 0000000094D0: E05C1800 80977826
	v_mfma_i32_16x16x32_i8 v[236:239], a[34:35], v[218:219], v[236:239]// 0000000094D8: D3D700EC 0FB3B522
	v_mfma_i32_16x16x32_i8 v[236:239], a[36:37], v[220:221], v[236:239]// 0000000094E0: D3D700EC 0FB3B924
	v_mfma_i32_16x16x32_i8 v[236:239], a[38:39], v[222:223], v[236:239]// 0000000094E8: D3D700EC 0FB3BD26
	v_mfma_i32_16x16x32_i8 v[236:239], a[40:41], v[224:225], v[236:239]// 0000000094F0: D3D700EC 0FB3C128
	buffer_load_dwordx4 a[124:127], v38, s[92:95], 0 offen offset:3072// 0000000094F8: E05C1C00 80977C26
	v_mfma_i32_16x16x32_i8 v[236:239], a[42:43], v[226:227], v[236:239]// 000000009500: D3D700EC 0FB3C52A
	v_mfma_i32_16x16x32_i8 v[236:239], a[44:45], v[228:229], v[236:239]// 000000009508: D3D700EC 0FB3C92C
	v_mfma_i32_16x16x32_i8 v[236:239], a[46:47], v[230:231], v[236:239]// 000000009510: D3D700EC 0FB3CD2E
	v_cvt_f32_i32_e32 v232, v232                               // 000000009518: 7FD00BE8
	v_cvt_f32_i32_e32 v233, v233                               // 00000000951C: 7FD20BE9
	v_cvt_f32_i32_e32 v234, v234                               // 000000009520: 7FD40BEA
	v_cvt_f32_i32_e32 v235, v235                               // 000000009524: 7FD60BEB
	v_pk_fma_f32 v[144:145], v[232:233], v[240:241], v[144:145]// 000000009528: D3B04090 1E43E1E8
	v_pk_fma_f32 v[146:147], v[234:235], v[240:241], v[146:147]// 000000009530: D3B04092 1E4BE1EA
	s_waitcnt vmcnt(33)                                        // 000000009538: BF8C8F71
	v_mfma_i32_16x16x32_i8 v[232:235], a[48:49], v[200:201], 0 // 00000000953C: D3D700E8 0A039130
	buffer_load_dwordx4 a[128:131], v39, s[92:95], 0 offen     // 000000009544: E05C1000 80978027
	v_mfma_i32_16x16x32_i8 v[232:235], a[50:51], v[202:203], v[232:235]// 00000000954C: D3D700E8 0FA39532
	v_mfma_i32_16x16x32_i8 v[232:235], a[52:53], v[204:205], v[232:235]// 000000009554: D3D700E8 0FA39934
	v_mfma_i32_16x16x32_i8 v[232:235], a[54:55], v[206:207], v[232:235]// 00000000955C: D3D700E8 0FA39D36
	v_mfma_i32_16x16x32_i8 v[232:235], a[56:57], v[208:209], v[232:235]// 000000009564: D3D700E8 0FA3A138
	buffer_load_dwordx4 a[132:135], v39, s[92:95], 0 offen offset:1024// 00000000956C: E05C1400 80978427
	v_mfma_i32_16x16x32_i8 v[232:235], a[58:59], v[210:211], v[232:235]// 000000009574: D3D700E8 0FA3A53A
	v_mfma_i32_16x16x32_i8 v[232:235], a[60:61], v[212:213], v[232:235]// 00000000957C: D3D700E8 0FA3A93C
	v_mfma_i32_16x16x32_i8 v[232:235], a[62:63], v[214:215], v[232:235]// 000000009584: D3D700E8 0FA3AD3E
	v_cvt_f32_i32_e32 v236, v236                               // 00000000958C: 7FD80BEC
	v_cvt_f32_i32_e32 v237, v237                               // 000000009590: 7FDA0BED
	v_cvt_f32_i32_e32 v238, v238                               // 000000009594: 7FDC0BEE
	v_cvt_f32_i32_e32 v239, v239                               // 000000009598: 7FDE0BEF
	v_pk_fma_f32 v[148:149], v[236:237], v[242:243], v[148:149]// 00000000959C: D3B04094 1E53E5EC
	v_pk_fma_f32 v[150:151], v[238:239], v[242:243], v[150:151]// 0000000095A4: D3B04096 1E5BE5EE
	v_mfma_i32_16x16x32_i8 v[236:239], a[48:49], v[216:217], 0 // 0000000095AC: D3D700EC 0A03B130
	buffer_load_dwordx4 a[136:139], v39, s[92:95], 0 offen offset:2048// 0000000095B4: E05C1800 80978827
	v_mfma_i32_16x16x32_i8 v[236:239], a[50:51], v[218:219], v[236:239]// 0000000095BC: D3D700EC 0FB3B532
	v_mfma_i32_16x16x32_i8 v[236:239], a[52:53], v[220:221], v[236:239]// 0000000095C4: D3D700EC 0FB3B934
	v_mfma_i32_16x16x32_i8 v[236:239], a[54:55], v[222:223], v[236:239]// 0000000095CC: D3D700EC 0FB3BD36
	v_mfma_i32_16x16x32_i8 v[236:239], a[56:57], v[224:225], v[236:239]// 0000000095D4: D3D700EC 0FB3C138
	buffer_load_dwordx4 a[140:143], v39, s[92:95], 0 offen offset:3072// 0000000095DC: E05C1C00 80978C27
	v_mfma_i32_16x16x32_i8 v[236:239], a[58:59], v[226:227], v[236:239]// 0000000095E4: D3D700EC 0FB3C53A
	v_mfma_i32_16x16x32_i8 v[236:239], a[60:61], v[228:229], v[236:239]// 0000000095EC: D3D700EC 0FB3C93C
	v_mfma_i32_16x16x32_i8 v[236:239], a[62:63], v[230:231], v[236:239]// 0000000095F4: D3D700EC 0FB3CD3E
	v_cvt_f32_i32_e32 v232, v232                               // 0000000095FC: 7FD00BE8
	v_cvt_f32_i32_e32 v233, v233                               // 000000009600: 7FD20BE9
	v_cvt_f32_i32_e32 v234, v234                               // 000000009604: 7FD40BEA
	v_cvt_f32_i32_e32 v235, v235                               // 000000009608: 7FD60BEB
	v_pk_fma_f32 v[152:153], v[232:233], v[240:241], v[152:153]// 00000000960C: D3B04098 1E63E1E8
	v_pk_fma_f32 v[154:155], v[234:235], v[240:241], v[154:155]// 000000009614: D3B0409A 1E6BE1EA
	s_waitcnt vmcnt(33)                                        // 00000000961C: BF8C8F71
	v_mfma_i32_16x16x32_i8 v[232:235], a[64:65], v[200:201], 0 // 000000009620: D3D700E8 0A039140
	buffer_load_dwordx4 a[144:147], v40, s[92:95], 0 offen     // 000000009628: E05C1000 80979028
	v_mfma_i32_16x16x32_i8 v[232:235], a[66:67], v[202:203], v[232:235]// 000000009630: D3D700E8 0FA39542
	v_mfma_i32_16x16x32_i8 v[232:235], a[68:69], v[204:205], v[232:235]// 000000009638: D3D700E8 0FA39944
	v_mfma_i32_16x16x32_i8 v[232:235], a[70:71], v[206:207], v[232:235]// 000000009640: D3D700E8 0FA39D46
	v_mfma_i32_16x16x32_i8 v[232:235], a[72:73], v[208:209], v[232:235]// 000000009648: D3D700E8 0FA3A148
	buffer_load_dwordx4 a[148:151], v40, s[92:95], 0 offen offset:1024// 000000009650: E05C1400 80979428
	v_mfma_i32_16x16x32_i8 v[232:235], a[74:75], v[210:211], v[232:235]// 000000009658: D3D700E8 0FA3A54A
	v_mfma_i32_16x16x32_i8 v[232:235], a[76:77], v[212:213], v[232:235]// 000000009660: D3D700E8 0FA3A94C
	v_mfma_i32_16x16x32_i8 v[232:235], a[78:79], v[214:215], v[232:235]// 000000009668: D3D700E8 0FA3AD4E
	v_cvt_f32_i32_e32 v236, v236                               // 000000009670: 7FD80BEC
	v_cvt_f32_i32_e32 v237, v237                               // 000000009674: 7FDA0BED
	v_cvt_f32_i32_e32 v238, v238                               // 000000009678: 7FDC0BEE
	v_cvt_f32_i32_e32 v239, v239                               // 00000000967C: 7FDE0BEF
	v_pk_fma_f32 v[156:157], v[236:237], v[242:243], v[156:157]// 000000009680: D3B0409C 1E73E5EC
	v_pk_fma_f32 v[158:159], v[238:239], v[242:243], v[158:159]// 000000009688: D3B0409E 1E7BE5EE
	v_mfma_i32_16x16x32_i8 v[236:239], a[64:65], v[216:217], 0 // 000000009690: D3D700EC 0A03B140
	buffer_load_dwordx4 a[152:155], v40, s[92:95], 0 offen offset:2048// 000000009698: E05C1800 80979828
	v_mfma_i32_16x16x32_i8 v[236:239], a[66:67], v[218:219], v[236:239]// 0000000096A0: D3D700EC 0FB3B542
	v_mfma_i32_16x16x32_i8 v[236:239], a[68:69], v[220:221], v[236:239]// 0000000096A8: D3D700EC 0FB3B944
	v_mfma_i32_16x16x32_i8 v[236:239], a[70:71], v[222:223], v[236:239]// 0000000096B0: D3D700EC 0FB3BD46
	v_mfma_i32_16x16x32_i8 v[236:239], a[72:73], v[224:225], v[236:239]// 0000000096B8: D3D700EC 0FB3C148
	buffer_load_dwordx4 a[156:159], v40, s[92:95], 0 offen offset:3072// 0000000096C0: E05C1C00 80979C28
	v_mfma_i32_16x16x32_i8 v[236:239], a[74:75], v[226:227], v[236:239]// 0000000096C8: D3D700EC 0FB3C54A
	v_mfma_i32_16x16x32_i8 v[236:239], a[76:77], v[228:229], v[236:239]// 0000000096D0: D3D700EC 0FB3C94C
	v_mfma_i32_16x16x32_i8 v[236:239], a[78:79], v[230:231], v[236:239]// 0000000096D8: D3D700EC 0FB3CD4E
	v_cvt_f32_i32_e32 v232, v232                               // 0000000096E0: 7FD00BE8
	v_cvt_f32_i32_e32 v233, v233                               // 0000000096E4: 7FD20BE9
	v_cvt_f32_i32_e32 v234, v234                               // 0000000096E8: 7FD40BEA
	v_cvt_f32_i32_e32 v235, v235                               // 0000000096EC: 7FD60BEB
	v_pk_fma_f32 v[160:161], v[232:233], v[240:241], v[160:161]// 0000000096F0: D3B040A0 1E83E1E8
	v_pk_fma_f32 v[162:163], v[234:235], v[240:241], v[162:163]// 0000000096F8: D3B040A2 1E8BE1EA
	v_cvt_f32_i32_e32 v236, v236                               // 000000009700: 7FD80BEC
	v_cvt_f32_i32_e32 v237, v237                               // 000000009704: 7FDA0BED
	v_cvt_f32_i32_e32 v238, v238                               // 000000009708: 7FDC0BEE
	v_cvt_f32_i32_e32 v239, v239                               // 00000000970C: 7FDE0BEF
	v_pk_fma_f32 v[164:165], v[236:237], v[242:243], v[164:165]// 000000009710: D3B040A4 1E93E5EC
	v_pk_fma_f32 v[166:167], v[238:239], v[242:243], v[166:167]// 000000009718: D3B040A6 1E9BE5EE
	s_waitcnt vmcnt(12)                                        // 000000009720: BF8C0F7C
	s_barrier                                                  // 000000009724: BF8A0000
	v_mfma_i32_16x16x32_i8 v[232:235], a[80:81], v[200:201], 0 // 000000009728: D3D700E8 0A039150
	buffer_load_dwordx4 a[0:3], v36, s[24:27], 0 offen         // 000000009730: E05C1000 80860024
	v_mfma_i32_16x16x32_i8 v[232:235], a[82:83], v[202:203], v[232:235]// 000000009738: D3D700E8 0FA39552
	ds_read_b64 v[168:169], v2 offset:2048                     // 000000009740: D8EC0800 A8000002
	ds_read_b64 v[172:173], v2 offset:10368                    // 000000009748: D8EC2880 AC000002
	v_mfma_i32_16x16x32_i8 v[232:235], a[84:85], v[204:205], v[232:235]// 000000009750: D3D700E8 0FA39954
	v_mfma_i32_16x16x32_i8 v[232:235], a[86:87], v[206:207], v[232:235]// 000000009758: D3D700E8 0FA39D56
	ds_read_b64 v[176:177], v2 offset:2176                     // 000000009760: D8EC0880 B0000002
	ds_read_b64 v[180:181], v2 offset:10496                    // 000000009768: D8EC2900 B4000002
	v_mfma_i32_16x16x32_i8 v[232:235], a[88:89], v[208:209], v[232:235]// 000000009770: D3D700E8 0FA3A158
	buffer_load_dwordx4 a[4:7], v36, s[24:27], 0 offen offset:1024// 000000009778: E05C1400 80860424
	v_mfma_i32_16x16x32_i8 v[232:235], a[90:91], v[210:211], v[232:235]// 000000009780: D3D700E8 0FA3A55A
	ds_read_b64 v[184:185], v2 offset:2304                     // 000000009788: D8EC0900 B8000002
	ds_read_b64 v[188:189], v2 offset:10624                    // 000000009790: D8EC2980 BC000002
	v_mfma_i32_16x16x32_i8 v[232:235], a[92:93], v[212:213], v[232:235]// 000000009798: D3D700E8 0FA3A95C
	v_mfma_i32_16x16x32_i8 v[232:235], a[94:95], v[214:215], v[232:235]// 0000000097A0: D3D700E8 0FA3AD5E
	ds_read_b64 v[192:193], v2 offset:2432                     // 0000000097A8: D8EC0980 C0000002
	ds_read_b64 v[196:197], v2 offset:10752                    // 0000000097B0: D8EC2A00 C4000002
	s_waitcnt lgkmcnt(4)                                       // 0000000097B8: BF8CC47F
	v_and_b32_e32 v171, 0xffff0000, v169                       // 0000000097BC: 275752FF FFFF0000
	v_lshlrev_b32_e32 v170, 16, v169                           // 0000000097C4: 25555290
	v_and_b32_e32 v169, 0xffff0000, v168                       // 0000000097C8: 275350FF FFFF0000
	v_lshlrev_b32_e32 v168, 16, v168                           // 0000000097D0: 25515090
	v_and_b32_e32 v175, 0xffff0000, v173                       // 0000000097D4: 275F5AFF FFFF0000
	v_lshlrev_b32_e32 v174, 16, v173                           // 0000000097DC: 255D5A90
	v_and_b32_e32 v173, 0xffff0000, v172                       // 0000000097E0: 275B58FF FFFF0000
	v_lshlrev_b32_e32 v172, 16, v172                           // 0000000097E8: 25595890
	v_and_b32_e32 v179, 0xffff0000, v177                       // 0000000097EC: 276762FF FFFF0000
	v_lshlrev_b32_e32 v178, 16, v177                           // 0000000097F4: 25656290
	v_and_b32_e32 v177, 0xffff0000, v176                       // 0000000097F8: 276360FF FFFF0000
	v_lshlrev_b32_e32 v176, 16, v176                           // 000000009800: 25616090
	v_and_b32_e32 v183, 0xffff0000, v181                       // 000000009804: 276F6AFF FFFF0000
	v_lshlrev_b32_e32 v182, 16, v181                           // 00000000980C: 256D6A90
	v_and_b32_e32 v181, 0xffff0000, v180                       // 000000009810: 276B68FF FFFF0000
	v_lshlrev_b32_e32 v180, 16, v180                           // 000000009818: 25696890
	v_mul_f32_dpp v168, v14, v168 row_newbcast:0 row_mask:0xf bank_mask:0xf// 00000000981C: 0B5150FA FF01500E
	v_mul_f32_dpp v169, v14, v169 row_newbcast:1 row_mask:0xf bank_mask:0xf// 000000009824: 0B5352FA FF01510E
	v_mul_f32_dpp v170, v14, v170 row_newbcast:2 row_mask:0xf bank_mask:0xf// 00000000982C: 0B5554FA FF01520E
	v_mul_f32_dpp v171, v14, v171 row_newbcast:3 row_mask:0xf bank_mask:0xf// 000000009834: 0B5756FA FF01530E
	v_mul_f32_dpp v172, v14, v172 row_newbcast:0 row_mask:0xf bank_mask:0xf// 00000000983C: 0B5958FA FF01500E
	v_mul_f32_dpp v173, v14, v173 row_newbcast:1 row_mask:0xf bank_mask:0xf// 000000009844: 0B5B5AFA FF01510E
	v_mul_f32_dpp v174, v14, v174 row_newbcast:2 row_mask:0xf bank_mask:0xf// 00000000984C: 0B5D5CFA FF01520E
	v_mul_f32_dpp v175, v14, v175 row_newbcast:3 row_mask:0xf bank_mask:0xf// 000000009854: 0B5F5EFA FF01530E
	v_mul_f32_dpp v176, v14, v176 row_newbcast:4 row_mask:0xf bank_mask:0xf// 00000000985C: 0B6160FA FF01540E
	v_mul_f32_dpp v177, v14, v177 row_newbcast:5 row_mask:0xf bank_mask:0xf// 000000009864: 0B6362FA FF01550E
	v_mul_f32_dpp v178, v14, v178 row_newbcast:6 row_mask:0xf bank_mask:0xf// 00000000986C: 0B6564FA FF01560E
	v_mul_f32_dpp v179, v14, v179 row_newbcast:7 row_mask:0xf bank_mask:0xf// 000000009874: 0B6766FA FF01570E
	v_mul_f32_dpp v180, v14, v180 row_newbcast:4 row_mask:0xf bank_mask:0xf// 00000000987C: 0B6968FA FF01540E
	v_mul_f32_dpp v181, v14, v181 row_newbcast:5 row_mask:0xf bank_mask:0xf// 000000009884: 0B6B6AFA FF01550E
	v_mul_f32_dpp v182, v14, v182 row_newbcast:6 row_mask:0xf bank_mask:0xf// 00000000988C: 0B6D6CFA FF01560E
	v_mul_f32_dpp v183, v14, v183 row_newbcast:7 row_mask:0xf bank_mask:0xf// 000000009894: 0B6F6EFA FF01570E
	v_mfma_i32_16x16x32_i8 v[236:239], a[80:81], v[216:217], 0 // 00000000989C: D3D700EC 0A03B150
	buffer_load_dwordx4 a[8:11], v36, s[24:27], 0 offen offset:2048// 0000000098A4: E05C1800 80860824
	v_mfma_i32_16x16x32_i8 v[236:239], a[82:83], v[218:219], v[236:239]// 0000000098AC: D3D700EC 0FB3B552
	v_mfma_i32_16x16x32_i8 v[236:239], a[84:85], v[220:221], v[236:239]// 0000000098B4: D3D700EC 0FB3B954
	v_mfma_i32_16x16x32_i8 v[236:239], a[86:87], v[222:223], v[236:239]// 0000000098BC: D3D700EC 0FB3BD56
	v_mfma_i32_16x16x32_i8 v[236:239], a[88:89], v[224:225], v[236:239]// 0000000098C4: D3D700EC 0FB3C158
	buffer_load_dwordx4 a[12:15], v36, s[24:27], 0 offen offset:3072// 0000000098CC: E05C1C00 80860C24
	v_mfma_i32_16x16x32_i8 v[236:239], a[90:91], v[226:227], v[236:239]// 0000000098D4: D3D700EC 0FB3C55A
	v_mfma_i32_16x16x32_i8 v[236:239], a[92:93], v[228:229], v[236:239]// 0000000098DC: D3D700EC 0FB3C95C
	v_mfma_i32_16x16x32_i8 v[236:239], a[94:95], v[230:231], v[236:239]// 0000000098E4: D3D700EC 0FB3CD5E
	s_waitcnt lgkmcnt(0)                                       // 0000000098EC: BF8CC07F
	v_and_b32_e32 v187, 0xffff0000, v185                       // 0000000098F0: 277772FF FFFF0000
	v_lshlrev_b32_e32 v186, 16, v185                           // 0000000098F8: 25757290
	v_and_b32_e32 v185, 0xffff0000, v184                       // 0000000098FC: 277370FF FFFF0000
	v_lshlrev_b32_e32 v184, 16, v184                           // 000000009904: 25717090
	v_and_b32_e32 v191, 0xffff0000, v189                       // 000000009908: 277F7AFF FFFF0000
	v_lshlrev_b32_e32 v190, 16, v189                           // 000000009910: 257D7A90
	v_and_b32_e32 v189, 0xffff0000, v188                       // 000000009914: 277B78FF FFFF0000
	v_lshlrev_b32_e32 v188, 16, v188                           // 00000000991C: 25797890
	v_and_b32_e32 v195, 0xffff0000, v193                       // 000000009920: 278782FF FFFF0000
	v_lshlrev_b32_e32 v194, 16, v193                           // 000000009928: 25858290
	v_and_b32_e32 v193, 0xffff0000, v192                       // 00000000992C: 278380FF FFFF0000
	v_lshlrev_b32_e32 v192, 16, v192                           // 000000009934: 25818090
	v_and_b32_e32 v199, 0xffff0000, v197                       // 000000009938: 278F8AFF FFFF0000
	v_lshlrev_b32_e32 v198, 16, v197                           // 000000009940: 258D8A90
	v_and_b32_e32 v197, 0xffff0000, v196                       // 000000009944: 278B88FF FFFF0000
	v_lshlrev_b32_e32 v196, 16, v196                           // 00000000994C: 25898890
	v_mul_f32_dpp v184, v14, v184 row_newbcast:8 row_mask:0xf bank_mask:0xf// 000000009950: 0B7170FA FF01580E
	v_mul_f32_dpp v185, v14, v185 row_newbcast:9 row_mask:0xf bank_mask:0xf// 000000009958: 0B7372FA FF01590E
	v_mul_f32_dpp v186, v14, v186 row_newbcast:10 row_mask:0xf bank_mask:0xf// 000000009960: 0B7574FA FF015A0E
	v_mul_f32_dpp v187, v14, v187 row_newbcast:11 row_mask:0xf bank_mask:0xf// 000000009968: 0B7776FA FF015B0E
	v_mul_f32_dpp v188, v14, v188 row_newbcast:8 row_mask:0xf bank_mask:0xf// 000000009970: 0B7978FA FF01580E
	v_mul_f32_dpp v189, v14, v189 row_newbcast:9 row_mask:0xf bank_mask:0xf// 000000009978: 0B7B7AFA FF01590E
	v_mul_f32_dpp v190, v14, v190 row_newbcast:10 row_mask:0xf bank_mask:0xf// 000000009980: 0B7D7CFA FF015A0E
	v_mul_f32_dpp v191, v14, v191 row_newbcast:11 row_mask:0xf bank_mask:0xf// 000000009988: 0B7F7EFA FF015B0E
	v_mul_f32_dpp v192, v14, v192 row_newbcast:12 row_mask:0xf bank_mask:0xf// 000000009990: 0B8180FA FF015C0E
	v_mul_f32_dpp v193, v14, v193 row_newbcast:13 row_mask:0xf bank_mask:0xf// 000000009998: 0B8382FA FF015D0E
	v_mul_f32_dpp v194, v14, v194 row_newbcast:14 row_mask:0xf bank_mask:0xf// 0000000099A0: 0B8584FA FF015E0E
	v_mul_f32_dpp v195, v14, v195 row_newbcast:15 row_mask:0xf bank_mask:0xf// 0000000099A8: 0B8786FA FF015F0E
	v_mul_f32_dpp v196, v14, v196 row_newbcast:12 row_mask:0xf bank_mask:0xf// 0000000099B0: 0B8988FA FF015C0E
	v_mul_f32_dpp v197, v14, v197 row_newbcast:13 row_mask:0xf bank_mask:0xf// 0000000099B8: 0B8B8AFA FF015D0E
	v_mul_f32_dpp v198, v14, v198 row_newbcast:14 row_mask:0xf bank_mask:0xf// 0000000099C0: 0B8D8CFA FF015E0E
	v_mul_f32_dpp v199, v14, v199 row_newbcast:15 row_mask:0xf bank_mask:0xf// 0000000099C8: 0B8F8EFA FF015F0E
	v_cvt_f32_i32_e32 v232, v232                               // 0000000099D0: 7FD00BE8
	v_cvt_f32_i32_e32 v233, v233                               // 0000000099D4: 7FD20BE9
	v_cvt_f32_i32_e32 v234, v234                               // 0000000099D8: 7FD40BEA
	v_cvt_f32_i32_e32 v235, v235                               // 0000000099DC: 7FD60BEB
	v_pk_fma_f32 v[64:65], v[232:233], v[240:241], v[64:65]    // 0000000099E0: D3B04040 1D03E1E8
	v_pk_fma_f32 v[66:67], v[234:235], v[240:241], v[66:67]    // 0000000099E8: D3B04042 1D0BE1EA
	v_mfma_i32_16x16x32_i8 v[232:235], a[96:97], v[200:201], 0 // 0000000099F0: D3D700E8 0A039160
	buffer_load_dwordx4 a[16:19], v37, s[24:27], 0 offen       // 0000000099F8: E05C1000 80861025
	v_mfma_i32_16x16x32_i8 v[232:235], a[98:99], v[202:203], v[232:235]// 000000009A00: D3D700E8 0FA39562
	v_mov_b32_e32 v46, 0x358637bd                              // 000000009A08: 7E5C02FF 358637BD
	v_mov_b32_e32 v47, 0x358637bd                              // 000000009A10: 7E5E02FF 358637BD
	v_max3_f32 v46, |v168|, |v169|, v46                        // 000000009A18: D1D3032E 04BB53A8
	v_max3_f32 v46, |v170|, |v171|, v46                        // 000000009A20: D1D3032E 04BB57AA
	v_max3_f32 v47, |v172|, |v173|, v47                        // 000000009A28: D1D3032F 04BF5BAC
	v_max3_f32 v47, |v174|, |v175|, v47                        // 000000009A30: D1D3032F 04BF5FAE
	v_max3_f32 v46, |v176|, |v177|, v46                        // 000000009A38: D1D3032E 04BB63B0
	v_max3_f32 v46, |v178|, |v179|, v46                        // 000000009A40: D1D3032E 04BB67B2
	v_max3_f32 v47, |v180|, |v181|, v47                        // 000000009A48: D1D3032F 04BF6BB4
	v_max3_f32 v47, |v182|, |v183|, v47                        // 000000009A50: D1D3032F 04BF6FB6
	v_max3_f32 v46, |v184|, |v185|, v46                        // 000000009A58: D1D3032E 04BB73B8
	v_max3_f32 v46, |v186|, |v187|, v46                        // 000000009A60: D1D3032E 04BB77BA
	v_max3_f32 v47, |v188|, |v189|, v47                        // 000000009A68: D1D3032F 04BF7BBC
	v_max3_f32 v47, |v190|, |v191|, v47                        // 000000009A70: D1D3032F 04BF7FBE
	v_max3_f32 v46, |v192|, |v193|, v46                        // 000000009A78: D1D3032E 04BB83C0
	v_max3_f32 v46, |v194|, |v195|, v46                        // 000000009A80: D1D3032E 04BB87C2
	v_max3_f32 v47, |v196|, |v197|, v47                        // 000000009A88: D1D3032F 04BF8BC4
	v_max3_f32 v47, |v198|, |v199|, v47                        // 000000009A90: D1D3032F 04BF8FC6
	v_mfma_i32_16x16x32_i8 v[232:235], a[100:101], v[204:205], v[232:235]// 000000009A98: D3D700E8 0FA39964
	v_mfma_i32_16x16x32_i8 v[232:235], a[102:103], v[206:207], v[232:235]// 000000009AA0: D3D700E8 0FA39D66
	ds_write_b64 v3, v[46:47]                                  // 000000009AA8: D89A0000 00002E03
	v_mfma_i32_16x16x32_i8 v[232:235], a[104:105], v[208:209], v[232:235]// 000000009AB0: D3D700E8 0FA3A168
	buffer_load_dwordx4 a[20:23], v37, s[24:27], 0 offen offset:1024// 000000009AB8: E05C1400 80861425
	v_mfma_i32_16x16x32_i8 v[232:235], a[106:107], v[210:211], v[232:235]// 000000009AC0: D3D700E8 0FA3A56A
	s_waitcnt lgkmcnt(0)                                       // 000000009AC8: BF8CC07F
	s_barrier                                                  // 000000009ACC: BF8A0000
	v_mfma_i32_16x16x32_i8 v[232:235], a[108:109], v[212:213], v[232:235]// 000000009AD0: D3D700E8 0FA3A96C
	v_mfma_i32_16x16x32_i8 v[232:235], a[110:111], v[214:215], v[232:235]// 000000009AD8: D3D700E8 0FA3AD6E
	ds_read_b64 v[46:47], v4                                   // 000000009AE0: D8EC0000 2E000004
	ds_read_b64 v[48:49], v4 offset:128                        // 000000009AE8: D8EC0080 30000004
	v_cvt_f32_i32_e32 v236, v236                               // 000000009AF0: 7FD80BEC
	v_cvt_f32_i32_e32 v237, v237                               // 000000009AF4: 7FDA0BED
	v_cvt_f32_i32_e32 v238, v238                               // 000000009AF8: 7FDC0BEE
	v_cvt_f32_i32_e32 v239, v239                               // 000000009AFC: 7FDE0BEF
	v_pk_fma_f32 v[68:69], v[236:237], v[242:243], v[68:69]    // 000000009B00: D3B04044 1D13E5EC
	v_pk_fma_f32 v[70:71], v[238:239], v[242:243], v[70:71]    // 000000009B08: D3B04046 1D1BE5EE
	v_mfma_i32_16x16x32_i8 v[236:239], a[96:97], v[216:217], 0 // 000000009B10: D3D700EC 0A03B160
	buffer_load_dwordx4 a[24:27], v37, s[24:27], 0 offen offset:2048// 000000009B18: E05C1800 80861825
	v_mfma_i32_16x16x32_i8 v[236:239], a[98:99], v[218:219], v[236:239]// 000000009B20: D3D700EC 0FB3B562
	ds_read_b64 v[50:51], v4 offset:256                        // 000000009B28: D8EC0100 32000004
	ds_read_b64 v[52:53], v4 offset:384                        // 000000009B30: D8EC0180 34000004
	v_mfma_i32_16x16x32_i8 v[236:239], a[100:101], v[220:221], v[236:239]// 000000009B38: D3D700EC 0FB3B964
	v_mfma_i32_16x16x32_i8 v[236:239], a[102:103], v[222:223], v[236:239]// 000000009B40: D3D700EC 0FB3BD66
	ds_read_b64 v[54:55], v4 offset:512                        // 000000009B48: D8EC0200 36000004
	ds_read_b64 v[56:57], v4 offset:640                        // 000000009B50: D8EC0280 38000004
	v_mfma_i32_16x16x32_i8 v[236:239], a[104:105], v[224:225], v[236:239]// 000000009B58: D3D700EC 0FB3C168
	buffer_load_dwordx4 a[28:31], v37, s[24:27], 0 offen offset:3072// 000000009B60: E05C1C00 80861C25
	v_mfma_i32_16x16x32_i8 v[236:239], a[106:107], v[226:227], v[236:239]// 000000009B68: D3D700EC 0FB3C56A
	ds_read_b64 v[58:59], v4 offset:768                        // 000000009B70: D8EC0300 3A000004
	ds_read_b64 v[60:61], v4 offset:896                        // 000000009B78: D8EC0380 3C000004
	v_mfma_i32_16x16x32_i8 v[236:239], a[108:109], v[228:229], v[236:239]// 000000009B80: D3D700EC 0FB3C96C
	v_mfma_i32_16x16x32_i8 v[236:239], a[110:111], v[230:231], v[236:239]// 000000009B88: D3D700EC 0FB3CD6E
	v_cvt_f32_i32_e32 v232, v232                               // 000000009B90: 7FD00BE8
	v_cvt_f32_i32_e32 v233, v233                               // 000000009B94: 7FD20BE9
	v_cvt_f32_i32_e32 v234, v234                               // 000000009B98: 7FD40BEA
	v_cvt_f32_i32_e32 v235, v235                               // 000000009B9C: 7FD60BEB
	v_pk_fma_f32 v[72:73], v[232:233], v[240:241], v[72:73]    // 000000009BA0: D3B04048 1D23E1E8
	v_pk_fma_f32 v[74:75], v[234:235], v[240:241], v[74:75]    // 000000009BA8: D3B0404A 1D2BE1EA
	s_waitcnt vmcnt(16)                                        // 000000009BB0: BF8C4F70
	v_mfma_i32_16x16x32_i8 v[232:235], a[112:113], v[200:201], 0// 000000009BB4: D3D700E8 0A039170
	buffer_load_dwordx4 a[32:35], v38, s[24:27], 0 offen       // 000000009BBC: E05C1000 80862026
	v_mfma_i32_16x16x32_i8 v[232:235], a[114:115], v[202:203], v[232:235]// 000000009BC4: D3D700E8 0FA39572
	s_waitcnt lgkmcnt(0)                                       // 000000009BCC: BF8CC07F
	v_mov_b32_e32 v22, 0x358637bd                              // 000000009BD0: 7E2C02FF 358637BD
	v_mov_b32_e32 v23, 0x358637bd                              // 000000009BD8: 7E2E02FF 358637BD
	v_max3_f32 v22, |v46|, |v48|, v22                          // 000000009BE0: D1D30316 045A612E
	v_max3_f32 v23, |v47|, |v49|, v23                          // 000000009BE8: D1D30317 045E632F
	v_max3_f32 v22, |v50|, |v52|, v22                          // 000000009BF0: D1D30316 045A6932
	v_max3_f32 v23, |v51|, |v53|, v23                          // 000000009BF8: D1D30317 045E6B33
	v_max3_f32 v22, |v54|, |v56|, v22                          // 000000009C00: D1D30316 045A7136
	v_max3_f32 v23, |v55|, |v57|, v23                          // 000000009C08: D1D30317 045E7337
	v_max3_f32 v22, |v58|, |v60|, v22                          // 000000009C10: D1D30316 045A793A
	v_max3_f32 v23, |v59|, |v61|, v23                          // 000000009C18: D1D30317 045E7B3B
	v_mfma_i32_16x16x32_i8 v[232:235], a[116:117], v[204:205], v[232:235]// 000000009C20: D3D700E8 0FA39974
	v_mfma_i32_16x16x32_i8 v[232:235], a[118:119], v[206:207], v[232:235]// 000000009C28: D3D700E8 0FA39D76
	ds_read_b64 v[46:47], v4 offset:1024                       // 000000009C30: D8EC0400 2E000004
	ds_read_b64 v[48:49], v4 offset:1152                       // 000000009C38: D8EC0480 30000004
	v_mfma_i32_16x16x32_i8 v[232:235], a[120:121], v[208:209], v[232:235]// 000000009C40: D3D700E8 0FA3A178
	buffer_load_dwordx4 a[36:39], v38, s[24:27], 0 offen offset:1024// 000000009C48: E05C1400 80862426
	v_mfma_i32_16x16x32_i8 v[232:235], a[122:123], v[210:211], v[232:235]// 000000009C50: D3D700E8 0FA3A57A
	ds_read_b64 v[50:51], v4 offset:1280                       // 000000009C58: D8EC0500 32000004
	ds_read_b64 v[52:53], v4 offset:1408                       // 000000009C60: D8EC0580 34000004
	v_mfma_i32_16x16x32_i8 v[232:235], a[124:125], v[212:213], v[232:235]// 000000009C68: D3D700E8 0FA3A97C
	v_mfma_i32_16x16x32_i8 v[232:235], a[126:127], v[214:215], v[232:235]// 000000009C70: D3D700E8 0FA3AD7E
	ds_read_b64 v[54:55], v4 offset:1536                       // 000000009C78: D8EC0600 36000004
	ds_read_b64 v[56:57], v4 offset:1664                       // 000000009C80: D8EC0680 38000004
	v_cvt_f32_i32_e32 v236, v236                               // 000000009C88: 7FD80BEC
	v_cvt_f32_i32_e32 v237, v237                               // 000000009C8C: 7FDA0BED
	v_cvt_f32_i32_e32 v238, v238                               // 000000009C90: 7FDC0BEE
	v_cvt_f32_i32_e32 v239, v239                               // 000000009C94: 7FDE0BEF
	v_pk_fma_f32 v[76:77], v[236:237], v[242:243], v[76:77]    // 000000009C98: D3B0404C 1D33E5EC
	v_pk_fma_f32 v[78:79], v[238:239], v[242:243], v[78:79]    // 000000009CA0: D3B0404E 1D3BE5EE
	v_mfma_i32_16x16x32_i8 v[236:239], a[112:113], v[216:217], 0// 000000009CA8: D3D700EC 0A03B170
	buffer_load_dwordx4 a[40:43], v38, s[24:27], 0 offen offset:2048// 000000009CB0: E05C1800 80862826
	v_mfma_i32_16x16x32_i8 v[236:239], a[114:115], v[218:219], v[236:239]// 000000009CB8: D3D700EC 0FB3B572
	ds_read_b64 v[58:59], v4 offset:1792                       // 000000009CC0: D8EC0700 3A000004
	ds_read_b64 v[60:61], v4 offset:1920                       // 000000009CC8: D8EC0780 3C000004
	v_mfma_i32_16x16x32_i8 v[236:239], a[116:117], v[220:221], v[236:239]// 000000009CD0: D3D700EC 0FB3B974
	v_mfma_i32_16x16x32_i8 v[236:239], a[118:119], v[222:223], v[236:239]// 000000009CD8: D3D700EC 0FB3BD76
	v_mfma_i32_16x16x32_i8 v[236:239], a[120:121], v[224:225], v[236:239]// 000000009CE0: D3D700EC 0FB3C178
	buffer_load_dwordx4 a[44:47], v38, s[24:27], 0 offen offset:3072// 000000009CE8: E05C1C00 80862C26
	v_mfma_i32_16x16x32_i8 v[236:239], a[122:123], v[226:227], v[236:239]// 000000009CF0: D3D700EC 0FB3C57A
	s_waitcnt lgkmcnt(0)                                       // 000000009CF8: BF8CC07F
	v_max3_f32 v22, |v46|, |v48|, v22                          // 000000009CFC: D1D30316 045A612E
	v_max3_f32 v23, |v47|, |v49|, v23                          // 000000009D04: D1D30317 045E632F
	v_max3_f32 v22, |v50|, |v52|, v22                          // 000000009D0C: D1D30316 045A6932
	v_max3_f32 v23, |v51|, |v53|, v23                          // 000000009D14: D1D30317 045E6B33
	v_max3_f32 v22, |v54|, |v56|, v22                          // 000000009D1C: D1D30316 045A7136
	v_max3_f32 v23, |v55|, |v57|, v23                          // 000000009D24: D1D30317 045E7337
	v_max3_f32 v22, |v58|, |v60|, v22                          // 000000009D2C: D1D30316 045A793A
	v_max3_f32 v23, |v59|, |v61|, v23                          // 000000009D34: D1D30317 045E7B3B
	v_mov_b32_e32 v42, 0x42fe0000                              // 000000009D3C: 7E5402FF 42FE0000
	v_rcp_f32_e32 v22, v22                                     // 000000009D44: 7E2C4516
	v_rcp_f32_e32 v23, v23                                     // 000000009D48: 7E2E4517
	s_nop 1                                                    // 000000009D4C: BF800001
	v_mul_f32_e32 v22, v42, v22                                // 000000009D50: 0A2C2D2A
	v_mul_f32_e32 v23, v42, v23                                // 000000009D54: 0A2E2F2A
	v_rcp_f32_e32 v24, v22                                     // 000000009D58: 7E304516
	v_rcp_f32_e32 v25, v23                                     // 000000009D5C: 7E324517
	v_mov_b32_e32 v42, v22                                     // 000000009D60: 7E540316
	v_mov_b32_e32 v43, v22                                     // 000000009D64: 7E560316
	v_mov_b32_e32 v44, v23                                     // 000000009D68: 7E580317
	v_mov_b32_e32 v45, v23                                     // 000000009D6C: 7E5A0317
	v_pk_mul_f32 v[168:169], v[42:43], v[168:169]              // 000000009D70: D3B140A8 1803512A
	v_pk_mul_f32 v[170:171], v[42:43], v[170:171]              // 000000009D78: D3B140AA 1803552A
	v_cvt_i32_f32_e32 v168, v168                               // 000000009D80: 7F5011A8
	v_cvt_i32_f32_e32 v169, v169                               // 000000009D84: 7F5211A9
	v_cvt_i32_f32_e32 v170, v170                               // 000000009D88: 7F5411AA
	v_cvt_i32_f32_e32 v171, v171                               // 000000009D8C: 7F5611AB
	v_perm_b32 v168, v169, v168, s53                           // 000000009D90: D1ED00A8 00D751A9
	v_perm_b32 v168, v170, v168, s54                           // 000000009D98: D1ED00A8 00DB51AA
	v_perm_b32 v168, v171, v168, s55                           // 000000009DA0: D1ED00A8 00DF51AB
	v_pk_mul_f32 v[172:173], v[44:45], v[172:173]              // 000000009DA8: D3B140AC 1803592C
	v_pk_mul_f32 v[174:175], v[44:45], v[174:175]              // 000000009DB0: D3B140AE 18035D2C
	v_cvt_i32_f32_e32 v172, v172                               // 000000009DB8: 7F5811AC
	v_cvt_i32_f32_e32 v173, v173                               // 000000009DBC: 7F5A11AD
	v_cvt_i32_f32_e32 v174, v174                               // 000000009DC0: 7F5C11AE
	v_cvt_i32_f32_e32 v175, v175                               // 000000009DC4: 7F5E11AF
	v_perm_b32 v169, v173, v172, s53                           // 000000009DC8: D1ED00A9 00D759AD
	v_perm_b32 v169, v174, v169, s54                           // 000000009DD0: D1ED00A9 00DB53AE
	v_perm_b32 v169, v175, v169, s55                           // 000000009DD8: D1ED00A9 00DF53AF
	v_pk_mul_f32 v[176:177], v[42:43], v[176:177]              // 000000009DE0: D3B140B0 1803612A
	v_pk_mul_f32 v[178:179], v[42:43], v[178:179]              // 000000009DE8: D3B140B2 1803652A
	v_cvt_i32_f32_e32 v176, v176                               // 000000009DF0: 7F6011B0
	v_cvt_i32_f32_e32 v177, v177                               // 000000009DF4: 7F6211B1
	v_cvt_i32_f32_e32 v178, v178                               // 000000009DF8: 7F6411B2
	v_cvt_i32_f32_e32 v179, v179                               // 000000009DFC: 7F6611B3
	v_perm_b32 v170, v177, v176, s53                           // 000000009E00: D1ED00AA 00D761B1
	v_perm_b32 v170, v178, v170, s54                           // 000000009E08: D1ED00AA 00DB55B2
	v_perm_b32 v170, v179, v170, s55                           // 000000009E10: D1ED00AA 00DF55B3
	v_pk_mul_f32 v[180:181], v[44:45], v[180:181]              // 000000009E18: D3B140B4 1803692C
	v_pk_mul_f32 v[182:183], v[44:45], v[182:183]              // 000000009E20: D3B140B6 18036D2C
	v_cvt_i32_f32_e32 v180, v180                               // 000000009E28: 7F6811B4
	v_cvt_i32_f32_e32 v181, v181                               // 000000009E2C: 7F6A11B5
	v_cvt_i32_f32_e32 v182, v182                               // 000000009E30: 7F6C11B6
	v_cvt_i32_f32_e32 v183, v183                               // 000000009E34: 7F6E11B7
	v_perm_b32 v171, v181, v180, s53                           // 000000009E38: D1ED00AB 00D769B5
	v_perm_b32 v171, v182, v171, s54                           // 000000009E40: D1ED00AB 00DB57B6
	v_perm_b32 v171, v183, v171, s55                           // 000000009E48: D1ED00AB 00DF57B7
	v_pk_mul_f32 v[184:185], v[42:43], v[184:185]              // 000000009E50: D3B140B8 1803712A
	v_pk_mul_f32 v[186:187], v[42:43], v[186:187]              // 000000009E58: D3B140BA 1803752A
	v_cvt_i32_f32_e32 v184, v184                               // 000000009E60: 7F7011B8
	v_cvt_i32_f32_e32 v185, v185                               // 000000009E64: 7F7211B9
	v_cvt_i32_f32_e32 v186, v186                               // 000000009E68: 7F7411BA
	v_cvt_i32_f32_e32 v187, v187                               // 000000009E6C: 7F7611BB
	v_perm_b32 v172, v185, v184, s53                           // 000000009E70: D1ED00AC 00D771B9
	v_perm_b32 v172, v186, v172, s54                           // 000000009E78: D1ED00AC 00DB59BA
	v_perm_b32 v172, v187, v172, s55                           // 000000009E80: D1ED00AC 00DF59BB
	v_pk_mul_f32 v[188:189], v[44:45], v[188:189]              // 000000009E88: D3B140BC 1803792C
	v_pk_mul_f32 v[190:191], v[44:45], v[190:191]              // 000000009E90: D3B140BE 18037D2C
	v_cvt_i32_f32_e32 v188, v188                               // 000000009E98: 7F7811BC
	v_cvt_i32_f32_e32 v189, v189                               // 000000009E9C: 7F7A11BD
	v_cvt_i32_f32_e32 v190, v190                               // 000000009EA0: 7F7C11BE
	v_cvt_i32_f32_e32 v191, v191                               // 000000009EA4: 7F7E11BF
	v_perm_b32 v173, v189, v188, s53                           // 000000009EA8: D1ED00AD 00D779BD
	v_perm_b32 v173, v190, v173, s54                           // 000000009EB0: D1ED00AD 00DB5BBE
	v_perm_b32 v173, v191, v173, s55                           // 000000009EB8: D1ED00AD 00DF5BBF
	v_pk_mul_f32 v[192:193], v[42:43], v[192:193]              // 000000009EC0: D3B140C0 1803812A
	v_pk_mul_f32 v[194:195], v[42:43], v[194:195]              // 000000009EC8: D3B140C2 1803852A
	v_cvt_i32_f32_e32 v192, v192                               // 000000009ED0: 7F8011C0
	v_cvt_i32_f32_e32 v193, v193                               // 000000009ED4: 7F8211C1
	v_cvt_i32_f32_e32 v194, v194                               // 000000009ED8: 7F8411C2
	v_cvt_i32_f32_e32 v195, v195                               // 000000009EDC: 7F8611C3
	v_perm_b32 v174, v193, v192, s53                           // 000000009EE0: D1ED00AE 00D781C1
	v_perm_b32 v174, v194, v174, s54                           // 000000009EE8: D1ED00AE 00DB5DC2
	v_perm_b32 v174, v195, v174, s55                           // 000000009EF0: D1ED00AE 00DF5DC3
	v_pk_mul_f32 v[196:197], v[44:45], v[196:197]              // 000000009EF8: D3B140C4 1803892C
	v_pk_mul_f32 v[198:199], v[44:45], v[198:199]              // 000000009F00: D3B140C6 18038D2C
	v_cvt_i32_f32_e32 v196, v196                               // 000000009F08: 7F8811C4
	v_cvt_i32_f32_e32 v197, v197                               // 000000009F0C: 7F8A11C5
	v_cvt_i32_f32_e32 v198, v198                               // 000000009F10: 7F8C11C6
	v_cvt_i32_f32_e32 v199, v199                               // 000000009F14: 7F8E11C7
	v_perm_b32 v175, v197, v196, s53                           // 000000009F18: D1ED00AF 00D789C5
	v_perm_b32 v175, v198, v175, s54                           // 000000009F20: D1ED00AF 00DB5FC6
	v_perm_b32 v175, v199, v175, s55                           // 000000009F28: D1ED00AF 00DF5FC7
	v_mfma_i32_16x16x32_i8 v[236:239], a[124:125], v[228:229], v[236:239]// 000000009F30: D3D700EC 0FB3C97C
	v_mfma_i32_16x16x32_i8 v[236:239], a[126:127], v[230:231], v[236:239]// 000000009F38: D3D700EC 0FB3CD7E
	ds_write_b32 v12, v168 offset:2048                         // 000000009F40: D81A0800 0000A80C
	ds_write_b32 v12, v169 offset:6144                         // 000000009F48: D81A1800 0000A90C
	v_cvt_f32_i32_e32 v232, v232                               // 000000009F50: 7FD00BE8
	v_cvt_f32_i32_e32 v233, v233                               // 000000009F54: 7FD20BE9
	v_cvt_f32_i32_e32 v234, v234                               // 000000009F58: 7FD40BEA
	v_cvt_f32_i32_e32 v235, v235                               // 000000009F5C: 7FD60BEB
	v_pk_fma_f32 v[80:81], v[232:233], v[240:241], v[80:81]    // 000000009F60: D3B04050 1D43E1E8
	v_pk_fma_f32 v[82:83], v[234:235], v[240:241], v[82:83]    // 000000009F68: D3B04052 1D4BE1EA
	s_waitcnt vmcnt(16)                                        // 000000009F70: BF8C4F70
	v_mfma_i32_16x16x32_i8 v[232:235], a[128:129], v[200:201], 0// 000000009F74: D3D700E8 0A039180
	buffer_load_dwordx4 a[48:51], v39, s[24:27], 0 offen       // 000000009F7C: E05C1000 80863027
	v_mfma_i32_16x16x32_i8 v[232:235], a[130:131], v[202:203], v[232:235]// 000000009F84: D3D700E8 0FA39582
	ds_write_b32 v12, v170 offset:3072                         // 000000009F8C: D81A0C00 0000AA0C
	ds_write_b32 v12, v171 offset:7168                         // 000000009F94: D81A1C00 0000AB0C
	v_mfma_i32_16x16x32_i8 v[232:235], a[132:133], v[204:205], v[232:235]// 000000009F9C: D3D700E8 0FA39984
	v_mfma_i32_16x16x32_i8 v[232:235], a[134:135], v[206:207], v[232:235]// 000000009FA4: D3D700E8 0FA39D86
	ds_write_b32 v12, v172 offset:4096                         // 000000009FAC: D81A1000 0000AC0C
	ds_write_b32 v12, v173 offset:8192                         // 000000009FB4: D81A2000 0000AD0C
	v_mfma_i32_16x16x32_i8 v[232:235], a[136:137], v[208:209], v[232:235]// 000000009FBC: D3D700E8 0FA3A188
	buffer_load_dwordx4 a[52:55], v39, s[24:27], 0 offen offset:1024// 000000009FC4: E05C1400 80863427
	v_mfma_i32_16x16x32_i8 v[232:235], a[138:139], v[210:211], v[232:235]// 000000009FCC: D3D700E8 0FA3A58A
	ds_write_b32 v12, v174 offset:5120                         // 000000009FD4: D81A1400 0000AE0C
	ds_write_b32 v12, v175 offset:9216                         // 000000009FDC: D81A2400 0000AF0C
	v_mfma_i32_16x16x32_i8 v[232:235], a[140:141], v[212:213], v[232:235]// 000000009FE4: D3D700E8 0FA3A98C
	v_mfma_i32_16x16x32_i8 v[232:235], a[142:143], v[214:215], v[232:235]// 000000009FEC: D3D700E8 0FA3AD8E
	v_cvt_f32_i32_e32 v236, v236                               // 000000009FF4: 7FD80BEC
	v_cvt_f32_i32_e32 v237, v237                               // 000000009FF8: 7FDA0BED
	v_cvt_f32_i32_e32 v238, v238                               // 000000009FFC: 7FDC0BEE
	v_cvt_f32_i32_e32 v239, v239                               // 00000000A000: 7FDE0BEF
	v_pk_fma_f32 v[84:85], v[236:237], v[242:243], v[84:85]    // 00000000A004: D3B04054 1D53E5EC
	v_pk_fma_f32 v[86:87], v[238:239], v[242:243], v[86:87]    // 00000000A00C: D3B04056 1D5BE5EE
	v_mfma_i32_16x16x32_i8 v[236:239], a[128:129], v[216:217], 0// 00000000A014: D3D700EC 0A03B180
	buffer_load_dwordx4 a[56:59], v39, s[24:27], 0 offen offset:2048// 00000000A01C: E05C1800 80863827
	v_mfma_i32_16x16x32_i8 v[236:239], a[130:131], v[218:219], v[236:239]// 00000000A024: D3D700EC 0FB3B582
	v_mfma_i32_16x16x32_i8 v[236:239], a[132:133], v[220:221], v[236:239]// 00000000A02C: D3D700EC 0FB3B984
	v_mfma_i32_16x16x32_i8 v[236:239], a[134:135], v[222:223], v[236:239]// 00000000A034: D3D700EC 0FB3BD86
	s_waitcnt lgkmcnt(0)                                       // 00000000A03C: BF8CC07F
	s_barrier                                                  // 00000000A040: BF8A0000
	v_mfma_i32_16x16x32_i8 v[236:239], a[136:137], v[224:225], v[236:239]// 00000000A044: D3D700EC 0FB3C188
	buffer_load_dwordx4 a[60:63], v39, s[24:27], 0 offen offset:3072// 00000000A04C: E05C1C00 80863C27
	v_mfma_i32_16x16x32_i8 v[236:239], a[138:139], v[226:227], v[236:239]// 00000000A054: D3D700EC 0FB3C58A
	ds_read_b64 v[168:169], v13 offset:2048                    // 00000000A05C: D8EC0800 A800000D
	ds_read_b64 v[170:171], v13 offset:2176                    // 00000000A064: D8EC0880 AA00000D
	v_mfma_i32_16x16x32_i8 v[236:239], a[140:141], v[228:229], v[236:239]// 00000000A06C: D3D700EC 0FB3C98C
	v_mfma_i32_16x16x32_i8 v[236:239], a[142:143], v[230:231], v[236:239]// 00000000A074: D3D700EC 0FB3CD8E
	ds_read_b64 v[172:173], v13 offset:3072                    // 00000000A07C: D8EC0C00 AC00000D
	ds_read_b64 v[174:175], v13 offset:3200                    // 00000000A084: D8EC0C80 AE00000D
	v_cvt_f32_i32_e32 v232, v232                               // 00000000A08C: 7FD00BE8
	v_cvt_f32_i32_e32 v233, v233                               // 00000000A090: 7FD20BE9
	v_cvt_f32_i32_e32 v234, v234                               // 00000000A094: 7FD40BEA
	v_cvt_f32_i32_e32 v235, v235                               // 00000000A098: 7FD60BEB
	v_pk_fma_f32 v[88:89], v[232:233], v[240:241], v[88:89]    // 00000000A09C: D3B04058 1D63E1E8
	v_pk_fma_f32 v[90:91], v[234:235], v[240:241], v[90:91]    // 00000000A0A4: D3B0405A 1D6BE1EA
	s_waitcnt vmcnt(16)                                        // 00000000A0AC: BF8C4F70
	v_mfma_i32_16x16x32_i8 v[232:235], a[144:145], v[200:201], 0// 00000000A0B0: D3D700E8 0A039190
	buffer_load_dwordx4 a[64:67], v40, s[24:27], 0 offen       // 00000000A0B8: E05C1000 80864028
	v_mfma_i32_16x16x32_i8 v[232:235], a[146:147], v[202:203], v[232:235]// 00000000A0C0: D3D700E8 0FA39592
	ds_read_b64 v[176:177], v13 offset:4096                    // 00000000A0C8: D8EC1000 B000000D
	ds_read_b64 v[178:179], v13 offset:4224                    // 00000000A0D0: D8EC1080 B200000D
	v_mfma_i32_16x16x32_i8 v[232:235], a[148:149], v[204:205], v[232:235]// 00000000A0D8: D3D700E8 0FA39994
	v_mfma_i32_16x16x32_i8 v[232:235], a[150:151], v[206:207], v[232:235]// 00000000A0E0: D3D700E8 0FA39D96
	ds_read_b64 v[180:181], v13 offset:5120                    // 00000000A0E8: D8EC1400 B400000D
	ds_read_b64 v[182:183], v13 offset:5248                    // 00000000A0F0: D8EC1480 B600000D
	v_mfma_i32_16x16x32_i8 v[232:235], a[152:153], v[208:209], v[232:235]// 00000000A0F8: D3D700E8 0FA3A198
	buffer_load_dwordx4 a[68:71], v40, s[24:27], 0 offen offset:1024// 00000000A100: E05C1400 80864428
	v_mfma_i32_16x16x32_i8 v[232:235], a[154:155], v[210:211], v[232:235]// 00000000A108: D3D700E8 0FA3A59A
	ds_read_b64 v[184:185], v13 offset:6144                    // 00000000A110: D8EC1800 B800000D
	ds_read_b64 v[186:187], v13 offset:6272                    // 00000000A118: D8EC1880 BA00000D
	v_mfma_i32_16x16x32_i8 v[232:235], a[156:157], v[212:213], v[232:235]// 00000000A120: D3D700E8 0FA3A99C
	v_mfma_i32_16x16x32_i8 v[232:235], a[158:159], v[214:215], v[232:235]// 00000000A128: D3D700E8 0FA3AD9E
	ds_read_b64 v[188:189], v13 offset:7168                    // 00000000A130: D8EC1C00 BC00000D
	ds_read_b64 v[190:191], v13 offset:7296                    // 00000000A138: D8EC1C80 BE00000D
	v_cvt_f32_i32_e32 v236, v236                               // 00000000A140: 7FD80BEC
	v_cvt_f32_i32_e32 v237, v237                               // 00000000A144: 7FDA0BED
	v_cvt_f32_i32_e32 v238, v238                               // 00000000A148: 7FDC0BEE
	v_cvt_f32_i32_e32 v239, v239                               // 00000000A14C: 7FDE0BEF
	v_pk_fma_f32 v[92:93], v[236:237], v[242:243], v[92:93]    // 00000000A150: D3B0405C 1D73E5EC
	v_pk_fma_f32 v[94:95], v[238:239], v[242:243], v[94:95]    // 00000000A158: D3B0405E 1D7BE5EE
	v_mfma_i32_16x16x32_i8 v[236:239], a[144:145], v[216:217], 0// 00000000A160: D3D700EC 0A03B190
	buffer_load_dwordx4 a[72:75], v40, s[24:27], 0 offen offset:2048// 00000000A168: E05C1800 80864828
	v_mfma_i32_16x16x32_i8 v[236:239], a[146:147], v[218:219], v[236:239]// 00000000A170: D3D700EC 0FB3B592
	ds_read_b64 v[192:193], v13 offset:8192                    // 00000000A178: D8EC2000 C000000D
	ds_read_b64 v[194:195], v13 offset:8320                    // 00000000A180: D8EC2080 C200000D
	v_mfma_i32_16x16x32_i8 v[236:239], a[148:149], v[220:221], v[236:239]// 00000000A188: D3D700EC 0FB3B994
	v_mfma_i32_16x16x32_i8 v[236:239], a[150:151], v[222:223], v[236:239]// 00000000A190: D3D700EC 0FB3BD96
	ds_read_b64 v[196:197], v13 offset:9216                    // 00000000A198: D8EC2400 C400000D
	ds_read_b64 v[198:199], v13 offset:9344                    // 00000000A1A0: D8EC2480 C600000D
	v_mfma_i32_16x16x32_i8 v[236:239], a[152:153], v[224:225], v[236:239]// 00000000A1A8: D3D700EC 0FB3C198
	buffer_load_dwordx4 a[76:79], v40, s[24:27], 0 offen offset:3072// 00000000A1B0: E05C1C00 80864C28
	v_mfma_i32_16x16x32_i8 v[236:239], a[154:155], v[226:227], v[236:239]// 00000000A1B8: D3D700EC 0FB3C59A
	v_mfma_i32_16x16x32_i8 v[236:239], a[156:157], v[228:229], v[236:239]// 00000000A1C0: D3D700EC 0FB3C99C
	v_mfma_i32_16x16x32_i8 v[236:239], a[158:159], v[230:231], v[236:239]// 00000000A1C8: D3D700EC 0FB3CD9E
	v_cvt_f32_i32_e32 v232, v232                               // 00000000A1D0: 7FD00BE8
	v_cvt_f32_i32_e32 v233, v233                               // 00000000A1D4: 7FD20BE9
	v_cvt_f32_i32_e32 v234, v234                               // 00000000A1D8: 7FD40BEA
	v_cvt_f32_i32_e32 v235, v235                               // 00000000A1DC: 7FD60BEB
	v_pk_fma_f32 v[96:97], v[232:233], v[240:241], v[96:97]    // 00000000A1E0: D3B04060 1D83E1E8
	v_pk_fma_f32 v[98:99], v[234:235], v[240:241], v[98:99]    // 00000000A1E8: D3B04062 1D8BE1EA
	v_cvt_f32_i32_e32 v236, v236                               // 00000000A1F0: 7FD80BEC
	v_cvt_f32_i32_e32 v237, v237                               // 00000000A1F4: 7FDA0BED
	v_cvt_f32_i32_e32 v238, v238                               // 00000000A1F8: 7FDC0BEE
	v_cvt_f32_i32_e32 v239, v239                               // 00000000A1FC: 7FDE0BEF
	v_pk_fma_f32 v[100:101], v[236:237], v[242:243], v[100:101]// 00000000A200: D3B04064 1D93E5EC
	v_pk_fma_f32 v[102:103], v[238:239], v[242:243], v[102:103]// 00000000A208: D3B04066 1D9BE5EE
	s_add_u32 s60, 0x200, s80                                  // 00000000A210: 803C50FF 00000200
	s_cmp_lt_u32 s60, s81                                      // 00000000A218: BF0A513C
	s_cselect_b32 s57, s57, 0                                  // 00000000A21C: 85398039
	s_cselect_b32 s91, s91, 0                                  // 00000000A220: 855B805B
	s_add_u32 s60, 0x200, s80                                  // 00000000A224: 803C50FF 00000200
	s_cmp_lt_u32 s60, s81                                      // 00000000A22C: BF0A513C
	s_cselect_b32 s58, s58, 0                                  // 00000000A230: 853A803A
	s_add_u32 s20, s57, s20                                    // 00000000A234: 80141439
	s_addc_u32 s21, 0, s21                                     // 00000000A238: 82151580
	s_add_u32 s28, s91, s28                                    // 00000000A23C: 801C1C5B
	s_addc_u32 s29, 0, s29                                     // 00000000A240: 821D1D80
	s_add_u32 s24, s58, s24                                    // 00000000A244: 8018183A
	s_addc_u32 s25, 0, s25                                     // 00000000A248: 82191980
	s_add_u32 s92, s90, s92                                    // 00000000A24C: 805C5C5A
	s_addc_u32 s93, 0, s93                                     // 00000000A250: 825D5D80
	s_addk_i32 s80, 0x100                                      // 00000000A254: B7500100
	s_cmp_lt_i32 s80, s81                                      // 00000000A258: BF045150
	s_cbranch_scc0 label_1D19                                  // 00000000A25C: BF840001
	s_branch label_14D4                                        // 00000000A260: BF82F7BB

000000000000a264 <label_1D19>:
	s_mov_b32 s36, -1                                          // 00000000A264: BEA400C1
	s_mov_b32 s37, -1                                          // 00000000A268: BEA500C1
	s_mov_b64 s[60:61], 0                                      // 00000000A26C: BEBC0180
	s_cmp_lt_u32 s82, s66                                      // 00000000A270: BF0A4252
	s_cselect_b64 s[20:21], s[36:37], s[60:61]                 // 00000000A274: 85943C24
	s_cmp_lt_u32 s83, s66                                      // 00000000A278: BF0A4253
	s_cselect_b64 s[22:23], s[36:37], s[60:61]                 // 00000000A27C: 85963C24
	s_cmp_lt_u32 s84, s66                                      // 00000000A280: BF0A4254
	s_cselect_b64 s[24:25], s[36:37], s[60:61]                 // 00000000A284: 85983C24
	s_cmp_lt_u32 s85, s66                                      // 00000000A288: BF0A4255
	s_cselect_b64 s[26:27], s[36:37], s[60:61]                 // 00000000A28C: 859A3C24
	s_cmp_lt_u32 s86, s66                                      // 00000000A290: BF0A4256
	s_cselect_b64 s[28:29], s[36:37], s[60:61]                 // 00000000A294: 859C3C24
	s_cmp_lt_u32 s87, s66                                      // 00000000A298: BF0A4257
	s_cselect_b64 s[30:31], s[36:37], s[60:61]                 // 00000000A29C: 859E3C24
	s_cmp_lt_u32 s88, s66                                      // 00000000A2A0: BF0A4258
	s_cselect_b64 s[32:33], s[36:37], s[60:61]                 // 00000000A2A4: 85A03C24
	s_cmp_lt_u32 s89, s66                                      // 00000000A2A8: BF0A4259
	s_cselect_b64 s[34:35], s[36:37], s[60:61]                 // 00000000A2AC: 85A23C24
	v_mov_b32_e32 v54, 0xbfcc4231                              // 00000000A2B0: 7E6C02FF BFCC4231
	v_mov_b32_e32 v55, 0xbfcc4231                              // 00000000A2B8: 7E6E02FF BFCC4231
	v_mov_b32_e32 v51, 0xffff0000                              // 00000000A2C0: 7E6602FF FFFF0000
	v_mov_b32_e32 v52, 0x7fff0000                              // 00000000A2C8: 7E6802FF 7FFF0000
	v_mov_b32_e32 v53, 0x7fff                                  // 00000000A2D0: 7E6A02FF 00007FFF
	s_mul_i32 s60, s5, 16                                      // 00000000A2D8: 923C9005
	s_mul_i32 s60, s60, s70                                    // 00000000A2DC: 923C463C
	v_lshlrev_b32_e32 v46, 4, v0                               // 00000000A2E0: 245C0084
	v_add_u32_e32 v46, s60, v46                                // 00000000A2E4: 685C5C3C
	s_mul_i32 s60, 64, s70                                     // 00000000A2E8: 923C46C0
	v_add_u32_e32 v47, s60, v46                                // 00000000A2EC: 685E5C3C
	v_add_u32_e32 v48, s60, v47                                // 00000000A2F0: 68605E3C
	v_add_u32_e32 v49, s60, v48                                // 00000000A2F4: 6862603C
	v_lshrrev_b32_e32 v42, 4, v0                               // 00000000A2F8: 20540084
	v_mul_i32_i24_e32 v3, 34, v42                              // 00000000A2FC: 0C0654A2
	v_and_b32_e32 v42, 15, v0                                  // 00000000A300: 2654008F
	v_mul_i32_i24_e32 v43, 2, v42                              // 00000000A304: 0C565482
	v_add_u32_e32 v3, v43, v3                                  // 00000000A308: 6806072B
	s_mul_i32 s60, s5, 0x88                                    // 00000000A30C: 923CFF05 00000088
	v_add_u32_e32 v3, s60, v3                                  // 00000000A314: 6806063C
	v_lshlrev_b32_e32 v3, 2, v3                                // 00000000A318: 24060682
	v_lshrrev_b32_e32 v42, 1, v0                               // 00000000A31C: 20540081
	v_mul_i32_i24_e32 v4, 34, v42                              // 00000000A320: 0C0854A2
	v_and_b32_e32 v43, 1, v0                                   // 00000000A324: 26560081
	v_add_u32_e32 v4, v43, v4                                  // 00000000A328: 6808092B
	s_mul_i32 s60, s5, 2                                       // 00000000A32C: 923C8205
	v_add_u32_e32 v4, s60, v4                                  // 00000000A330: 6808083C
	v_lshlrev_b32_e32 v4, 2, v4                                // 00000000A334: 24080882
	v_mul_f32_dpp v128, v16, v128 row_newbcast:0 row_mask:0xf bank_mask:0xf// 00000000A338: 0B0100FA FF015010
	v_mul_f32_dpp v129, v16, v129 row_newbcast:1 row_mask:0xf bank_mask:0xf// 00000000A340: 0B0302FA FF015110
	v_mul_f32_dpp v130, v16, v130 row_newbcast:2 row_mask:0xf bank_mask:0xf// 00000000A348: 0B0504FA FF015210
	v_mul_f32_dpp v131, v16, v131 row_newbcast:3 row_mask:0xf bank_mask:0xf// 00000000A350: 0B0706FA FF015310
	v_mul_f32_dpp v132, v16, v132 row_newbcast:0 row_mask:0xf bank_mask:0xf// 00000000A358: 0B0908FA FF015010
	v_mul_f32_dpp v133, v16, v133 row_newbcast:1 row_mask:0xf bank_mask:0xf// 00000000A360: 0B0B0AFA FF015110
	v_mul_f32_dpp v134, v16, v134 row_newbcast:2 row_mask:0xf bank_mask:0xf// 00000000A368: 0B0D0CFA FF015210
	v_mul_f32_dpp v135, v16, v135 row_newbcast:3 row_mask:0xf bank_mask:0xf// 00000000A370: 0B0F0EFA FF015310
	v_mul_f32_dpp v136, v16, v136 row_newbcast:4 row_mask:0xf bank_mask:0xf// 00000000A378: 0B1110FA FF015410
	v_mul_f32_dpp v137, v16, v137 row_newbcast:5 row_mask:0xf bank_mask:0xf// 00000000A380: 0B1312FA FF015510
	v_mul_f32_dpp v138, v16, v138 row_newbcast:6 row_mask:0xf bank_mask:0xf// 00000000A388: 0B1514FA FF015610
	v_mul_f32_dpp v139, v16, v139 row_newbcast:7 row_mask:0xf bank_mask:0xf// 00000000A390: 0B1716FA FF015710
	v_mul_f32_dpp v140, v16, v140 row_newbcast:4 row_mask:0xf bank_mask:0xf// 00000000A398: 0B1918FA FF015410
	v_mul_f32_dpp v141, v16, v141 row_newbcast:5 row_mask:0xf bank_mask:0xf// 00000000A3A0: 0B1B1AFA FF015510
	v_mul_f32_dpp v142, v16, v142 row_newbcast:6 row_mask:0xf bank_mask:0xf// 00000000A3A8: 0B1D1CFA FF015610
	v_mul_f32_dpp v143, v16, v143 row_newbcast:7 row_mask:0xf bank_mask:0xf// 00000000A3B0: 0B1F1EFA FF015710
	v_mul_f32_dpp v144, v16, v144 row_newbcast:8 row_mask:0xf bank_mask:0xf// 00000000A3B8: 0B2120FA FF015810
	v_mul_f32_dpp v145, v16, v145 row_newbcast:9 row_mask:0xf bank_mask:0xf// 00000000A3C0: 0B2322FA FF015910
	v_mul_f32_dpp v146, v16, v146 row_newbcast:10 row_mask:0xf bank_mask:0xf// 00000000A3C8: 0B2524FA FF015A10
	v_mul_f32_dpp v147, v16, v147 row_newbcast:11 row_mask:0xf bank_mask:0xf// 00000000A3D0: 0B2726FA FF015B10
	v_mul_f32_dpp v148, v16, v148 row_newbcast:8 row_mask:0xf bank_mask:0xf// 00000000A3D8: 0B2928FA FF015810
	v_mul_f32_dpp v149, v16, v149 row_newbcast:9 row_mask:0xf bank_mask:0xf// 00000000A3E0: 0B2B2AFA FF015910
	v_mul_f32_dpp v150, v16, v150 row_newbcast:10 row_mask:0xf bank_mask:0xf// 00000000A3E8: 0B2D2CFA FF015A10
	v_mul_f32_dpp v151, v16, v151 row_newbcast:11 row_mask:0xf bank_mask:0xf// 00000000A3F0: 0B2F2EFA FF015B10
	v_mul_f32_dpp v152, v16, v152 row_newbcast:12 row_mask:0xf bank_mask:0xf// 00000000A3F8: 0B3130FA FF015C10
	v_mul_f32_dpp v153, v16, v153 row_newbcast:13 row_mask:0xf bank_mask:0xf// 00000000A400: 0B3332FA FF015D10
	v_mul_f32_dpp v154, v16, v154 row_newbcast:14 row_mask:0xf bank_mask:0xf// 00000000A408: 0B3534FA FF015E10
	v_mul_f32_dpp v155, v16, v155 row_newbcast:15 row_mask:0xf bank_mask:0xf// 00000000A410: 0B3736FA FF015F10
	v_mul_f32_dpp v156, v16, v156 row_newbcast:12 row_mask:0xf bank_mask:0xf// 00000000A418: 0B3938FA FF015C10
	v_mul_f32_dpp v157, v16, v157 row_newbcast:13 row_mask:0xf bank_mask:0xf// 00000000A420: 0B3B3AFA FF015D10
	v_mul_f32_dpp v158, v16, v158 row_newbcast:14 row_mask:0xf bank_mask:0xf// 00000000A428: 0B3D3CFA FF015E10
	v_mul_f32_dpp v159, v16, v159 row_newbcast:15 row_mask:0xf bank_mask:0xf// 00000000A430: 0B3F3EFA FF015F10
	v_mul_f32_dpp v160, v17, v160 row_newbcast:0 row_mask:0xf bank_mask:0xf// 00000000A438: 0B4140FA FF015011
	v_mul_f32_dpp v161, v17, v161 row_newbcast:1 row_mask:0xf bank_mask:0xf// 00000000A440: 0B4342FA FF015111
	v_mul_f32_dpp v162, v17, v162 row_newbcast:2 row_mask:0xf bank_mask:0xf// 00000000A448: 0B4544FA FF015211
	v_mul_f32_dpp v163, v17, v163 row_newbcast:3 row_mask:0xf bank_mask:0xf// 00000000A450: 0B4746FA FF015311
	v_mul_f32_dpp v164, v17, v164 row_newbcast:0 row_mask:0xf bank_mask:0xf// 00000000A458: 0B4948FA FF015011
	v_mul_f32_dpp v165, v17, v165 row_newbcast:1 row_mask:0xf bank_mask:0xf// 00000000A460: 0B4B4AFA FF015111
	v_mul_f32_dpp v166, v17, v166 row_newbcast:2 row_mask:0xf bank_mask:0xf// 00000000A468: 0B4D4CFA FF015211
	v_mul_f32_dpp v167, v17, v167 row_newbcast:3 row_mask:0xf bank_mask:0xf// 00000000A470: 0B4F4EFA FF015311
	v_mul_f32_dpp v64, v8, v64 row_newbcast:0 row_mask:0xf bank_mask:0xf// 00000000A478: 0A8080FA FF015008
	v_mul_f32_dpp v65, v8, v65 row_newbcast:1 row_mask:0xf bank_mask:0xf// 00000000A480: 0A8282FA FF015108
	v_mul_f32_dpp v66, v8, v66 row_newbcast:2 row_mask:0xf bank_mask:0xf// 00000000A488: 0A8484FA FF015208
	v_mul_f32_dpp v67, v8, v67 row_newbcast:3 row_mask:0xf bank_mask:0xf// 00000000A490: 0A8686FA FF015308
	v_mul_f32_dpp v68, v8, v68 row_newbcast:0 row_mask:0xf bank_mask:0xf// 00000000A498: 0A8888FA FF015008
	v_mul_f32_dpp v69, v8, v69 row_newbcast:1 row_mask:0xf bank_mask:0xf// 00000000A4A0: 0A8A8AFA FF015108
	v_mul_f32_dpp v70, v8, v70 row_newbcast:2 row_mask:0xf bank_mask:0xf// 00000000A4A8: 0A8C8CFA FF015208
	v_mul_f32_dpp v71, v8, v71 row_newbcast:3 row_mask:0xf bank_mask:0xf// 00000000A4B0: 0A8E8EFA FF015308
	v_mul_f32_dpp v72, v8, v72 row_newbcast:4 row_mask:0xf bank_mask:0xf// 00000000A4B8: 0A9090FA FF015408
	v_mul_f32_dpp v73, v8, v73 row_newbcast:5 row_mask:0xf bank_mask:0xf// 00000000A4C0: 0A9292FA FF015508
	v_mul_f32_dpp v74, v8, v74 row_newbcast:6 row_mask:0xf bank_mask:0xf// 00000000A4C8: 0A9494FA FF015608
	v_mul_f32_dpp v75, v8, v75 row_newbcast:7 row_mask:0xf bank_mask:0xf// 00000000A4D0: 0A9696FA FF015708
	v_mul_f32_dpp v76, v8, v76 row_newbcast:4 row_mask:0xf bank_mask:0xf// 00000000A4D8: 0A9898FA FF015408
	v_mul_f32_dpp v77, v8, v77 row_newbcast:5 row_mask:0xf bank_mask:0xf// 00000000A4E0: 0A9A9AFA FF015508
	v_mul_f32_dpp v78, v8, v78 row_newbcast:6 row_mask:0xf bank_mask:0xf// 00000000A4E8: 0A9C9CFA FF015608
	v_mul_f32_dpp v79, v8, v79 row_newbcast:7 row_mask:0xf bank_mask:0xf// 00000000A4F0: 0A9E9EFA FF015708
	v_mul_f32_dpp v80, v8, v80 row_newbcast:8 row_mask:0xf bank_mask:0xf// 00000000A4F8: 0AA0A0FA FF015808
	v_mul_f32_dpp v81, v8, v81 row_newbcast:9 row_mask:0xf bank_mask:0xf// 00000000A500: 0AA2A2FA FF015908
	v_mul_f32_dpp v82, v8, v82 row_newbcast:10 row_mask:0xf bank_mask:0xf// 00000000A508: 0AA4A4FA FF015A08
	v_mul_f32_dpp v83, v8, v83 row_newbcast:11 row_mask:0xf bank_mask:0xf// 00000000A510: 0AA6A6FA FF015B08
	v_mul_f32_dpp v84, v8, v84 row_newbcast:8 row_mask:0xf bank_mask:0xf// 00000000A518: 0AA8A8FA FF015808
	v_mul_f32_dpp v85, v8, v85 row_newbcast:9 row_mask:0xf bank_mask:0xf// 00000000A520: 0AAAAAFA FF015908
	v_mul_f32_dpp v86, v8, v86 row_newbcast:10 row_mask:0xf bank_mask:0xf// 00000000A528: 0AACACFA FF015A08
	v_mul_f32_dpp v87, v8, v87 row_newbcast:11 row_mask:0xf bank_mask:0xf// 00000000A530: 0AAEAEFA FF015B08
	v_mul_f32_dpp v88, v8, v88 row_newbcast:12 row_mask:0xf bank_mask:0xf// 00000000A538: 0AB0B0FA FF015C08
	v_mul_f32_dpp v89, v8, v89 row_newbcast:13 row_mask:0xf bank_mask:0xf// 00000000A540: 0AB2B2FA FF015D08
	v_mul_f32_dpp v90, v8, v90 row_newbcast:14 row_mask:0xf bank_mask:0xf// 00000000A548: 0AB4B4FA FF015E08
	v_mul_f32_dpp v91, v8, v91 row_newbcast:15 row_mask:0xf bank_mask:0xf// 00000000A550: 0AB6B6FA FF015F08
	v_mul_f32_dpp v92, v8, v92 row_newbcast:12 row_mask:0xf bank_mask:0xf// 00000000A558: 0AB8B8FA FF015C08
	v_mul_f32_dpp v93, v8, v93 row_newbcast:13 row_mask:0xf bank_mask:0xf// 00000000A560: 0ABABAFA FF015D08
	v_mul_f32_dpp v94, v8, v94 row_newbcast:14 row_mask:0xf bank_mask:0xf// 00000000A568: 0ABCBCFA FF015E08
	v_mul_f32_dpp v95, v8, v95 row_newbcast:15 row_mask:0xf bank_mask:0xf// 00000000A570: 0ABEBEFA FF015F08
	v_mul_f32_dpp v96, v9, v96 row_newbcast:0 row_mask:0xf bank_mask:0xf// 00000000A578: 0AC0C0FA FF015009
	v_mul_f32_dpp v97, v9, v97 row_newbcast:1 row_mask:0xf bank_mask:0xf// 00000000A580: 0AC2C2FA FF015109
	v_mul_f32_dpp v98, v9, v98 row_newbcast:2 row_mask:0xf bank_mask:0xf// 00000000A588: 0AC4C4FA FF015209
	v_mul_f32_dpp v99, v9, v99 row_newbcast:3 row_mask:0xf bank_mask:0xf// 00000000A590: 0AC6C6FA FF015309
	v_mul_f32_dpp v100, v9, v100 row_newbcast:0 row_mask:0xf bank_mask:0xf// 00000000A598: 0AC8C8FA FF015009
	v_mul_f32_dpp v101, v9, v101 row_newbcast:1 row_mask:0xf bank_mask:0xf// 00000000A5A0: 0ACACAFA FF015109
	v_mul_f32_dpp v102, v9, v102 row_newbcast:2 row_mask:0xf bank_mask:0xf// 00000000A5A8: 0ACCCCFA FF015209
	v_mul_f32_dpp v103, v9, v103 row_newbcast:3 row_mask:0xf bank_mask:0xf// 00000000A5B0: 0ACECEFA FF015309
	s_waitcnt vmcnt(16)                                        // 00000000A5B8: BF8C4F70
	buffer_load_dwordx4 a[0:3], v46, s[12:15], 0 offen         // 00000000A5BC: E05C1000 8083002E
	v_mul_f32_e64 v42, -v128, s6                               // 00000000A5C4: D105002A 20000D80
	v_mul_f32_e64 v43, -v129, s6                               // 00000000A5CC: D105002B 20000D81
	v_mul_f32_e64 v44, -v130, s6                               // 00000000A5D4: D105002C 20000D82
	v_mul_f32_e64 v45, -v131, s6                               // 00000000A5DC: D105002D 20000D83
	v_exp_f32_e32 v42, v42                                     // 00000000A5E4: 7E54412A
	v_exp_f32_e32 v43, v43                                     // 00000000A5E8: 7E56412B
	v_exp_f32_e32 v44, v44                                     // 00000000A5EC: 7E58412C
	v_exp_f32_e32 v45, v45                                     // 00000000A5F0: 7E5A412D
	buffer_load_dwordx4 a[4:7], v47, s[12:15], 0 offen         // 00000000A5F4: E05C1000 8083042F
	v_add_f32_e64 v42, v42, 1.0                                // 00000000A5FC: D101002A 0001E52A
	v_add_f32_e64 v43, v43, 1.0                                // 00000000A604: D101002B 0001E52B
	v_add_f32_e64 v44, v44, 1.0                                // 00000000A60C: D101002C 0001E52C
	v_add_f32_e64 v45, v45, 1.0                                // 00000000A614: D101002D 0001E52D
	v_rcp_f32_e32 v42, v42                                     // 00000000A61C: 7E54452A
	v_rcp_f32_e32 v43, v43                                     // 00000000A620: 7E56452B
	v_rcp_f32_e32 v44, v44                                     // 00000000A624: 7E58452C
	v_rcp_f32_e32 v45, v45                                     // 00000000A628: 7E5A452D
	v_pk_mul_f32 v[128:129], v[128:129], v[42:43]              // 00000000A62C: D3B14080 18025580
	v_pk_mul_f32 v[130:131], v[130:131], v[44:45]              // 00000000A634: D3B14082 18025982
	v_pk_mul_f32 v[128:129], v[128:129], v[64:65]              // 00000000A63C: D3B14080 18028180
	v_pk_mul_f32 v[130:131], v[130:131], v[66:67]              // 00000000A644: D3B14082 18028582
	buffer_load_dwordx4 a[8:11], v48, s[12:15], 0 offen        // 00000000A64C: E05C1000 80830830
	v_mul_f32_e64 v42, -v132, s6                               // 00000000A654: D105002A 20000D84
	v_mul_f32_e64 v43, -v133, s6                               // 00000000A65C: D105002B 20000D85
	v_mul_f32_e64 v44, -v134, s6                               // 00000000A664: D105002C 20000D86
	v_mul_f32_e64 v45, -v135, s6                               // 00000000A66C: D105002D 20000D87
	v_exp_f32_e32 v42, v42                                     // 00000000A674: 7E54412A
	v_exp_f32_e32 v43, v43                                     // 00000000A678: 7E56412B
	v_exp_f32_e32 v44, v44                                     // 00000000A67C: 7E58412C
	v_exp_f32_e32 v45, v45                                     // 00000000A680: 7E5A412D
	buffer_load_dwordx4 a[12:15], v49, s[12:15], 0 offen       // 00000000A684: E05C1000 80830C31
	s_add_u32 s12, s78, s12                                    // 00000000A68C: 800C0C4E
	s_addc_u32 s13, 0, s13                                     // 00000000A690: 820D0D80
	v_add_f32_e64 v42, v42, 1.0                                // 00000000A694: D101002A 0001E52A
	v_add_f32_e64 v43, v43, 1.0                                // 00000000A69C: D101002B 0001E52B
	v_add_f32_e64 v44, v44, 1.0                                // 00000000A6A4: D101002C 0001E52C
	v_add_f32_e64 v45, v45, 1.0                                // 00000000A6AC: D101002D 0001E52D
	v_rcp_f32_e32 v42, v42                                     // 00000000A6B4: 7E54452A
	v_rcp_f32_e32 v43, v43                                     // 00000000A6B8: 7E56452B
	v_rcp_f32_e32 v44, v44                                     // 00000000A6BC: 7E58452C
	v_rcp_f32_e32 v45, v45                                     // 00000000A6C0: 7E5A452D
	v_pk_mul_f32 v[132:133], v[132:133], v[42:43]              // 00000000A6C4: D3B14084 18025584
	v_pk_mul_f32 v[134:135], v[134:135], v[44:45]              // 00000000A6CC: D3B14086 18025986
	v_pk_mul_f32 v[132:133], v[132:133], v[68:69]              // 00000000A6D4: D3B14084 18028984
	v_pk_mul_f32 v[134:135], v[134:135], v[70:71]              // 00000000A6DC: D3B14086 18028D86
	s_waitcnt vmcnt(16)                                        // 00000000A6E4: BF8C4F70
	buffer_load_dwordx4 a[16:19], v46, s[12:15], 0 offen       // 00000000A6E8: E05C1000 8083102E
	v_mul_f32_e64 v42, -v136, s6                               // 00000000A6F0: D105002A 20000D88
	v_mul_f32_e64 v43, -v137, s6                               // 00000000A6F8: D105002B 20000D89
	v_mul_f32_e64 v44, -v138, s6                               // 00000000A700: D105002C 20000D8A
	v_mul_f32_e64 v45, -v139, s6                               // 00000000A708: D105002D 20000D8B
	v_exp_f32_e32 v42, v42                                     // 00000000A710: 7E54412A
	v_exp_f32_e32 v43, v43                                     // 00000000A714: 7E56412B
	v_exp_f32_e32 v44, v44                                     // 00000000A718: 7E58412C
	v_exp_f32_e32 v45, v45                                     // 00000000A71C: 7E5A412D
	buffer_load_dwordx4 a[20:23], v47, s[12:15], 0 offen       // 00000000A720: E05C1000 8083142F
	v_add_f32_e64 v42, v42, 1.0                                // 00000000A728: D101002A 0001E52A
	v_add_f32_e64 v43, v43, 1.0                                // 00000000A730: D101002B 0001E52B
	v_add_f32_e64 v44, v44, 1.0                                // 00000000A738: D101002C 0001E52C
	v_add_f32_e64 v45, v45, 1.0                                // 00000000A740: D101002D 0001E52D
	v_rcp_f32_e32 v42, v42                                     // 00000000A748: 7E54452A
	v_rcp_f32_e32 v43, v43                                     // 00000000A74C: 7E56452B
	v_rcp_f32_e32 v44, v44                                     // 00000000A750: 7E58452C
	v_rcp_f32_e32 v45, v45                                     // 00000000A754: 7E5A452D
	v_pk_mul_f32 v[136:137], v[136:137], v[42:43]              // 00000000A758: D3B14088 18025588
	v_pk_mul_f32 v[138:139], v[138:139], v[44:45]              // 00000000A760: D3B1408A 1802598A
	v_pk_mul_f32 v[136:137], v[136:137], v[72:73]              // 00000000A768: D3B14088 18029188
	v_pk_mul_f32 v[138:139], v[138:139], v[74:75]              // 00000000A770: D3B1408A 1802958A
	buffer_load_dwordx4 a[24:27], v48, s[12:15], 0 offen       // 00000000A778: E05C1000 80831830
	v_mul_f32_e64 v42, -v140, s6                               // 00000000A780: D105002A 20000D8C
	v_mul_f32_e64 v43, -v141, s6                               // 00000000A788: D105002B 20000D8D
	v_mul_f32_e64 v44, -v142, s6                               // 00000000A790: D105002C 20000D8E
	v_mul_f32_e64 v45, -v143, s6                               // 00000000A798: D105002D 20000D8F
	v_exp_f32_e32 v42, v42                                     // 00000000A7A0: 7E54412A
	v_exp_f32_e32 v43, v43                                     // 00000000A7A4: 7E56412B
	v_exp_f32_e32 v44, v44                                     // 00000000A7A8: 7E58412C
	v_exp_f32_e32 v45, v45                                     // 00000000A7AC: 7E5A412D
	buffer_load_dwordx4 a[28:31], v49, s[12:15], 0 offen       // 00000000A7B0: E05C1000 80831C31
	s_add_u32 s12, s78, s12                                    // 00000000A7B8: 800C0C4E
	s_addc_u32 s13, 0, s13                                     // 00000000A7BC: 820D0D80
	v_add_f32_e64 v42, v42, 1.0                                // 00000000A7C0: D101002A 0001E52A
	v_add_f32_e64 v43, v43, 1.0                                // 00000000A7C8: D101002B 0001E52B
	v_add_f32_e64 v44, v44, 1.0                                // 00000000A7D0: D101002C 0001E52C
	v_add_f32_e64 v45, v45, 1.0                                // 00000000A7D8: D101002D 0001E52D
	v_rcp_f32_e32 v42, v42                                     // 00000000A7E0: 7E54452A
	v_rcp_f32_e32 v43, v43                                     // 00000000A7E4: 7E56452B
	v_rcp_f32_e32 v44, v44                                     // 00000000A7E8: 7E58452C
	v_rcp_f32_e32 v45, v45                                     // 00000000A7EC: 7E5A452D
	v_pk_mul_f32 v[140:141], v[140:141], v[42:43]              // 00000000A7F0: D3B1408C 1802558C
	v_pk_mul_f32 v[142:143], v[142:143], v[44:45]              // 00000000A7F8: D3B1408E 1802598E
	v_pk_mul_f32 v[140:141], v[140:141], v[76:77]              // 00000000A800: D3B1408C 1802998C
	v_pk_mul_f32 v[142:143], v[142:143], v[78:79]              // 00000000A808: D3B1408E 18029D8E
	s_waitcnt vmcnt(16)                                        // 00000000A810: BF8C4F70
	buffer_load_dwordx4 a[32:35], v46, s[12:15], 0 offen       // 00000000A814: E05C1000 8083202E
	v_mul_f32_e64 v42, -v144, s6                               // 00000000A81C: D105002A 20000D90
	v_mul_f32_e64 v43, -v145, s6                               // 00000000A824: D105002B 20000D91
	v_mul_f32_e64 v44, -v146, s6                               // 00000000A82C: D105002C 20000D92
	v_mul_f32_e64 v45, -v147, s6                               // 00000000A834: D105002D 20000D93
	v_exp_f32_e32 v42, v42                                     // 00000000A83C: 7E54412A
	v_exp_f32_e32 v43, v43                                     // 00000000A840: 7E56412B
	v_exp_f32_e32 v44, v44                                     // 00000000A844: 7E58412C
	v_exp_f32_e32 v45, v45                                     // 00000000A848: 7E5A412D
	buffer_load_dwordx4 a[36:39], v47, s[12:15], 0 offen       // 00000000A84C: E05C1000 8083242F
	v_add_f32_e64 v42, v42, 1.0                                // 00000000A854: D101002A 0001E52A
	v_add_f32_e64 v43, v43, 1.0                                // 00000000A85C: D101002B 0001E52B
	v_add_f32_e64 v44, v44, 1.0                                // 00000000A864: D101002C 0001E52C
	v_add_f32_e64 v45, v45, 1.0                                // 00000000A86C: D101002D 0001E52D
	v_rcp_f32_e32 v42, v42                                     // 00000000A874: 7E54452A
	v_rcp_f32_e32 v43, v43                                     // 00000000A878: 7E56452B
	v_rcp_f32_e32 v44, v44                                     // 00000000A87C: 7E58452C
	v_rcp_f32_e32 v45, v45                                     // 00000000A880: 7E5A452D
	v_pk_mul_f32 v[144:145], v[144:145], v[42:43]              // 00000000A884: D3B14090 18025590
	v_pk_mul_f32 v[146:147], v[146:147], v[44:45]              // 00000000A88C: D3B14092 18025992
	v_pk_mul_f32 v[144:145], v[144:145], v[80:81]              // 00000000A894: D3B14090 1802A190
	v_pk_mul_f32 v[146:147], v[146:147], v[82:83]              // 00000000A89C: D3B14092 1802A592
	buffer_load_dwordx4 a[40:43], v48, s[12:15], 0 offen       // 00000000A8A4: E05C1000 80832830
	v_mul_f32_e64 v42, -v148, s6                               // 00000000A8AC: D105002A 20000D94
	v_mul_f32_e64 v43, -v149, s6                               // 00000000A8B4: D105002B 20000D95
	v_mul_f32_e64 v44, -v150, s6                               // 00000000A8BC: D105002C 20000D96
	v_mul_f32_e64 v45, -v151, s6                               // 00000000A8C4: D105002D 20000D97
	v_exp_f32_e32 v42, v42                                     // 00000000A8CC: 7E54412A
	v_exp_f32_e32 v43, v43                                     // 00000000A8D0: 7E56412B
	v_exp_f32_e32 v44, v44                                     // 00000000A8D4: 7E58412C
	v_exp_f32_e32 v45, v45                                     // 00000000A8D8: 7E5A412D
	buffer_load_dwordx4 a[44:47], v49, s[12:15], 0 offen       // 00000000A8DC: E05C1000 80832C31
	s_add_u32 s12, s78, s12                                    // 00000000A8E4: 800C0C4E
	s_addc_u32 s13, 0, s13                                     // 00000000A8E8: 820D0D80
	v_add_f32_e64 v42, v42, 1.0                                // 00000000A8EC: D101002A 0001E52A
	v_add_f32_e64 v43, v43, 1.0                                // 00000000A8F4: D101002B 0001E52B
	v_add_f32_e64 v44, v44, 1.0                                // 00000000A8FC: D101002C 0001E52C
	v_add_f32_e64 v45, v45, 1.0                                // 00000000A904: D101002D 0001E52D
	v_rcp_f32_e32 v42, v42                                     // 00000000A90C: 7E54452A
	v_rcp_f32_e32 v43, v43                                     // 00000000A910: 7E56452B
	v_rcp_f32_e32 v44, v44                                     // 00000000A914: 7E58452C
	v_rcp_f32_e32 v45, v45                                     // 00000000A918: 7E5A452D
	v_pk_mul_f32 v[148:149], v[148:149], v[42:43]              // 00000000A91C: D3B14094 18025594
	v_pk_mul_f32 v[150:151], v[150:151], v[44:45]              // 00000000A924: D3B14096 18025996
	v_pk_mul_f32 v[148:149], v[148:149], v[84:85]              // 00000000A92C: D3B14094 1802A994
	v_pk_mul_f32 v[150:151], v[150:151], v[86:87]              // 00000000A934: D3B14096 1802AD96
	s_waitcnt vmcnt(16)                                        // 00000000A93C: BF8C4F70
	buffer_load_dwordx4 a[48:51], v46, s[12:15], 0 offen       // 00000000A940: E05C1000 8083302E
	v_mul_f32_e64 v42, -v152, s6                               // 00000000A948: D105002A 20000D98
	v_mul_f32_e64 v43, -v153, s6                               // 00000000A950: D105002B 20000D99
	v_mul_f32_e64 v44, -v154, s6                               // 00000000A958: D105002C 20000D9A
	v_mul_f32_e64 v45, -v155, s6                               // 00000000A960: D105002D 20000D9B
	v_exp_f32_e32 v42, v42                                     // 00000000A968: 7E54412A
	v_exp_f32_e32 v43, v43                                     // 00000000A96C: 7E56412B
	v_exp_f32_e32 v44, v44                                     // 00000000A970: 7E58412C
	v_exp_f32_e32 v45, v45                                     // 00000000A974: 7E5A412D
	buffer_load_dwordx4 a[52:55], v47, s[12:15], 0 offen       // 00000000A978: E05C1000 8083342F
	v_add_f32_e64 v42, v42, 1.0                                // 00000000A980: D101002A 0001E52A
	v_add_f32_e64 v43, v43, 1.0                                // 00000000A988: D101002B 0001E52B
	v_add_f32_e64 v44, v44, 1.0                                // 00000000A990: D101002C 0001E52C
	v_add_f32_e64 v45, v45, 1.0                                // 00000000A998: D101002D 0001E52D
	v_rcp_f32_e32 v42, v42                                     // 00000000A9A0: 7E54452A
	v_rcp_f32_e32 v43, v43                                     // 00000000A9A4: 7E56452B
	v_rcp_f32_e32 v44, v44                                     // 00000000A9A8: 7E58452C
	v_rcp_f32_e32 v45, v45                                     // 00000000A9AC: 7E5A452D
	v_pk_mul_f32 v[152:153], v[152:153], v[42:43]              // 00000000A9B0: D3B14098 18025598
	v_pk_mul_f32 v[154:155], v[154:155], v[44:45]              // 00000000A9B8: D3B1409A 1802599A
	v_pk_mul_f32 v[152:153], v[152:153], v[88:89]              // 00000000A9C0: D3B14098 1802B198
	v_pk_mul_f32 v[154:155], v[154:155], v[90:91]              // 00000000A9C8: D3B1409A 1802B59A
	buffer_load_dwordx4 a[56:59], v48, s[12:15], 0 offen       // 00000000A9D0: E05C1000 80833830
	v_mul_f32_e64 v42, -v156, s6                               // 00000000A9D8: D105002A 20000D9C
	v_mul_f32_e64 v43, -v157, s6                               // 00000000A9E0: D105002B 20000D9D
	v_mul_f32_e64 v44, -v158, s6                               // 00000000A9E8: D105002C 20000D9E
	v_mul_f32_e64 v45, -v159, s6                               // 00000000A9F0: D105002D 20000D9F
	v_exp_f32_e32 v42, v42                                     // 00000000A9F8: 7E54412A
	v_exp_f32_e32 v43, v43                                     // 00000000A9FC: 7E56412B
	v_exp_f32_e32 v44, v44                                     // 00000000AA00: 7E58412C
	v_exp_f32_e32 v45, v45                                     // 00000000AA04: 7E5A412D
	buffer_load_dwordx4 a[60:63], v49, s[12:15], 0 offen       // 00000000AA08: E05C1000 80833C31
	s_add_u32 s12, s78, s12                                    // 00000000AA10: 800C0C4E
	s_addc_u32 s13, 0, s13                                     // 00000000AA14: 820D0D80
	v_add_f32_e64 v42, v42, 1.0                                // 00000000AA18: D101002A 0001E52A
	v_add_f32_e64 v43, v43, 1.0                                // 00000000AA20: D101002B 0001E52B
	v_add_f32_e64 v44, v44, 1.0                                // 00000000AA28: D101002C 0001E52C
	v_add_f32_e64 v45, v45, 1.0                                // 00000000AA30: D101002D 0001E52D
	v_rcp_f32_e32 v42, v42                                     // 00000000AA38: 7E54452A
	v_rcp_f32_e32 v43, v43                                     // 00000000AA3C: 7E56452B
	v_rcp_f32_e32 v44, v44                                     // 00000000AA40: 7E58452C
	v_rcp_f32_e32 v45, v45                                     // 00000000AA44: 7E5A452D
	v_pk_mul_f32 v[156:157], v[156:157], v[42:43]              // 00000000AA48: D3B1409C 1802559C
	v_pk_mul_f32 v[158:159], v[158:159], v[44:45]              // 00000000AA50: D3B1409E 1802599E
	v_pk_mul_f32 v[156:157], v[156:157], v[92:93]              // 00000000AA58: D3B1409C 1802B99C
	v_pk_mul_f32 v[158:159], v[158:159], v[94:95]              // 00000000AA60: D3B1409E 1802BD9E
	s_waitcnt vmcnt(16)                                        // 00000000AA68: BF8C4F70
	buffer_load_dwordx4 a[64:67], v46, s[12:15], 0 offen       // 00000000AA6C: E05C1000 8083402E
	v_mul_f32_e64 v42, -v160, s6                               // 00000000AA74: D105002A 20000DA0
	v_mul_f32_e64 v43, -v161, s6                               // 00000000AA7C: D105002B 20000DA1
	v_mul_f32_e64 v44, -v162, s6                               // 00000000AA84: D105002C 20000DA2
	v_mul_f32_e64 v45, -v163, s6                               // 00000000AA8C: D105002D 20000DA3
	v_exp_f32_e32 v42, v42                                     // 00000000AA94: 7E54412A
	v_exp_f32_e32 v43, v43                                     // 00000000AA98: 7E56412B
	v_exp_f32_e32 v44, v44                                     // 00000000AA9C: 7E58412C
	v_exp_f32_e32 v45, v45                                     // 00000000AAA0: 7E5A412D
	buffer_load_dwordx4 a[68:71], v47, s[12:15], 0 offen       // 00000000AAA4: E05C1000 8083442F
	v_add_f32_e64 v42, v42, 1.0                                // 00000000AAAC: D101002A 0001E52A
	v_add_f32_e64 v43, v43, 1.0                                // 00000000AAB4: D101002B 0001E52B
	v_add_f32_e64 v44, v44, 1.0                                // 00000000AABC: D101002C 0001E52C
	v_add_f32_e64 v45, v45, 1.0                                // 00000000AAC4: D101002D 0001E52D
	v_rcp_f32_e32 v42, v42                                     // 00000000AACC: 7E54452A
	v_rcp_f32_e32 v43, v43                                     // 00000000AAD0: 7E56452B
	v_rcp_f32_e32 v44, v44                                     // 00000000AAD4: 7E58452C
	v_rcp_f32_e32 v45, v45                                     // 00000000AAD8: 7E5A452D
	v_pk_mul_f32 v[160:161], v[160:161], v[42:43]              // 00000000AADC: D3B140A0 180255A0
	v_pk_mul_f32 v[162:163], v[162:163], v[44:45]              // 00000000AAE4: D3B140A2 180259A2
	v_pk_mul_f32 v[160:161], v[160:161], v[96:97]              // 00000000AAEC: D3B140A0 1802C1A0
	v_pk_mul_f32 v[162:163], v[162:163], v[98:99]              // 00000000AAF4: D3B140A2 1802C5A2
	buffer_load_dwordx4 a[72:75], v48, s[12:15], 0 offen       // 00000000AAFC: E05C1000 80834830
	v_mul_f32_e64 v42, -v164, s6                               // 00000000AB04: D105002A 20000DA4
	v_mul_f32_e64 v43, -v165, s6                               // 00000000AB0C: D105002B 20000DA5
	v_mul_f32_e64 v44, -v166, s6                               // 00000000AB14: D105002C 20000DA6
	v_mul_f32_e64 v45, -v167, s6                               // 00000000AB1C: D105002D 20000DA7
	v_exp_f32_e32 v42, v42                                     // 00000000AB24: 7E54412A
	v_exp_f32_e32 v43, v43                                     // 00000000AB28: 7E56412B
	v_exp_f32_e32 v44, v44                                     // 00000000AB2C: 7E58412C
	v_exp_f32_e32 v45, v45                                     // 00000000AB30: 7E5A412D
	buffer_load_dwordx4 a[76:79], v49, s[12:15], 0 offen       // 00000000AB34: E05C1000 80834C31
	v_add_f32_e64 v42, v42, 1.0                                // 00000000AB3C: D101002A 0001E52A
	v_add_f32_e64 v43, v43, 1.0                                // 00000000AB44: D101002B 0001E52B
	v_add_f32_e64 v44, v44, 1.0                                // 00000000AB4C: D101002C 0001E52C
	v_add_f32_e64 v45, v45, 1.0                                // 00000000AB54: D101002D 0001E52D
	v_rcp_f32_e32 v42, v42                                     // 00000000AB5C: 7E54452A
	v_rcp_f32_e32 v43, v43                                     // 00000000AB60: 7E56452B
	v_rcp_f32_e32 v44, v44                                     // 00000000AB64: 7E58452C
	v_rcp_f32_e32 v45, v45                                     // 00000000AB68: 7E5A452D
	v_pk_mul_f32 v[164:165], v[164:165], v[42:43]              // 00000000AB6C: D3B140A4 180255A4
	v_pk_mul_f32 v[166:167], v[166:167], v[44:45]              // 00000000AB74: D3B140A6 180259A6
	v_pk_mul_f32 v[164:165], v[164:165], v[100:101]            // 00000000AB7C: D3B140A4 1802C9A4
	v_pk_mul_f32 v[166:167], v[166:167], v[102:103]            // 00000000AB84: D3B140A6 1802CDA6
	v_mul_f32_dpp v128, v18, v128 row_newbcast:0 row_mask:0xf bank_mask:0xf// 00000000AB8C: 0B0100FA FF015012
	v_mul_f32_dpp v129, v18, v129 row_newbcast:1 row_mask:0xf bank_mask:0xf// 00000000AB94: 0B0302FA FF015112
	v_mul_f32_dpp v130, v18, v130 row_newbcast:2 row_mask:0xf bank_mask:0xf// 00000000AB9C: 0B0504FA FF015212
	v_mul_f32_dpp v131, v18, v131 row_newbcast:3 row_mask:0xf bank_mask:0xf// 00000000ABA4: 0B0706FA FF015312
	v_mul_f32_dpp v132, v18, v132 row_newbcast:0 row_mask:0xf bank_mask:0xf// 00000000ABAC: 0B0908FA FF015012
	v_mul_f32_dpp v133, v18, v133 row_newbcast:1 row_mask:0xf bank_mask:0xf// 00000000ABB4: 0B0B0AFA FF015112
	v_mul_f32_dpp v134, v18, v134 row_newbcast:2 row_mask:0xf bank_mask:0xf// 00000000ABBC: 0B0D0CFA FF015212
	v_mul_f32_dpp v135, v18, v135 row_newbcast:3 row_mask:0xf bank_mask:0xf// 00000000ABC4: 0B0F0EFA FF015312
	v_mul_f32_dpp v136, v18, v136 row_newbcast:4 row_mask:0xf bank_mask:0xf// 00000000ABCC: 0B1110FA FF015412
	v_mul_f32_dpp v137, v18, v137 row_newbcast:5 row_mask:0xf bank_mask:0xf// 00000000ABD4: 0B1312FA FF015512
	v_mul_f32_dpp v138, v18, v138 row_newbcast:6 row_mask:0xf bank_mask:0xf// 00000000ABDC: 0B1514FA FF015612
	v_mul_f32_dpp v139, v18, v139 row_newbcast:7 row_mask:0xf bank_mask:0xf// 00000000ABE4: 0B1716FA FF015712
	v_mul_f32_dpp v140, v18, v140 row_newbcast:4 row_mask:0xf bank_mask:0xf// 00000000ABEC: 0B1918FA FF015412
	v_mul_f32_dpp v141, v18, v141 row_newbcast:5 row_mask:0xf bank_mask:0xf// 00000000ABF4: 0B1B1AFA FF015512
	v_mul_f32_dpp v142, v18, v142 row_newbcast:6 row_mask:0xf bank_mask:0xf// 00000000ABFC: 0B1D1CFA FF015612
	v_mul_f32_dpp v143, v18, v143 row_newbcast:7 row_mask:0xf bank_mask:0xf// 00000000AC04: 0B1F1EFA FF015712
	v_mul_f32_dpp v144, v18, v144 row_newbcast:8 row_mask:0xf bank_mask:0xf// 00000000AC0C: 0B2120FA FF015812
	v_mul_f32_dpp v145, v18, v145 row_newbcast:9 row_mask:0xf bank_mask:0xf// 00000000AC14: 0B2322FA FF015912
	v_mul_f32_dpp v146, v18, v146 row_newbcast:10 row_mask:0xf bank_mask:0xf// 00000000AC1C: 0B2524FA FF015A12
	v_mul_f32_dpp v147, v18, v147 row_newbcast:11 row_mask:0xf bank_mask:0xf// 00000000AC24: 0B2726FA FF015B12
	v_mul_f32_dpp v148, v18, v148 row_newbcast:8 row_mask:0xf bank_mask:0xf// 00000000AC2C: 0B2928FA FF015812
	v_mul_f32_dpp v149, v18, v149 row_newbcast:9 row_mask:0xf bank_mask:0xf// 00000000AC34: 0B2B2AFA FF015912
	v_mul_f32_dpp v150, v18, v150 row_newbcast:10 row_mask:0xf bank_mask:0xf// 00000000AC3C: 0B2D2CFA FF015A12
	v_mul_f32_dpp v151, v18, v151 row_newbcast:11 row_mask:0xf bank_mask:0xf// 00000000AC44: 0B2F2EFA FF015B12
	v_mul_f32_dpp v152, v18, v152 row_newbcast:12 row_mask:0xf bank_mask:0xf// 00000000AC4C: 0B3130FA FF015C12
	v_mul_f32_dpp v153, v18, v153 row_newbcast:13 row_mask:0xf bank_mask:0xf// 00000000AC54: 0B3332FA FF015D12
	v_mul_f32_dpp v154, v18, v154 row_newbcast:14 row_mask:0xf bank_mask:0xf// 00000000AC5C: 0B3534FA FF015E12
	v_mul_f32_dpp v155, v18, v155 row_newbcast:15 row_mask:0xf bank_mask:0xf// 00000000AC64: 0B3736FA FF015F12
	v_mul_f32_dpp v156, v18, v156 row_newbcast:12 row_mask:0xf bank_mask:0xf// 00000000AC6C: 0B3938FA FF015C12
	v_mul_f32_dpp v157, v18, v157 row_newbcast:13 row_mask:0xf bank_mask:0xf// 00000000AC74: 0B3B3AFA FF015D12
	v_mul_f32_dpp v158, v18, v158 row_newbcast:14 row_mask:0xf bank_mask:0xf// 00000000AC7C: 0B3D3CFA FF015E12
	v_mul_f32_dpp v159, v18, v159 row_newbcast:15 row_mask:0xf bank_mask:0xf// 00000000AC84: 0B3F3EFA FF015F12
	v_mul_f32_dpp v160, v19, v160 row_newbcast:0 row_mask:0xf bank_mask:0xf// 00000000AC8C: 0B4140FA FF015013
	v_mul_f32_dpp v161, v19, v161 row_newbcast:1 row_mask:0xf bank_mask:0xf// 00000000AC94: 0B4342FA FF015113
	v_mul_f32_dpp v162, v19, v162 row_newbcast:2 row_mask:0xf bank_mask:0xf// 00000000AC9C: 0B4544FA FF015213
	v_mul_f32_dpp v163, v19, v163 row_newbcast:3 row_mask:0xf bank_mask:0xf// 00000000ACA4: 0B4746FA FF015313
	v_mul_f32_dpp v164, v19, v164 row_newbcast:0 row_mask:0xf bank_mask:0xf// 00000000ACAC: 0B4948FA FF015013
	v_mul_f32_dpp v165, v19, v165 row_newbcast:1 row_mask:0xf bank_mask:0xf// 00000000ACB4: 0B4B4AFA FF015113
	v_mul_f32_dpp v166, v19, v166 row_newbcast:2 row_mask:0xf bank_mask:0xf// 00000000ACBC: 0B4D4CFA FF015213
	v_mul_f32_dpp v167, v19, v167 row_newbcast:3 row_mask:0xf bank_mask:0xf// 00000000ACC4: 0B4F4EFA FF015313
	v_lshlrev_b32_e32 v42, 2, v0                               // 00000000ACCC: 24540082
	s_mul_i32 s60, s82, s71                                    // 00000000ACD0: 923C4752
	v_add_u32_e64 v80, v42, s60                                // 00000000ACD4: D1340050 0000792A
	v_mov_b32_e32 v81, 0                                       // 00000000ACDC: 7EA20280
	s_mul_i32 s60, s83, s71                                    // 00000000ACE0: 923C4753
	v_add_u32_e64 v82, v42, s60                                // 00000000ACE4: D1340052 0000792A
	v_mov_b32_e32 v83, 0                                       // 00000000ACEC: 7EA60280
	s_mul_i32 s60, s84, s71                                    // 00000000ACF0: 923C4754
	v_add_u32_e64 v84, v42, s60                                // 00000000ACF4: D1340054 0000792A
	v_mov_b32_e32 v85, 0                                       // 00000000ACFC: 7EAA0280
	s_mul_i32 s60, s85, s71                                    // 00000000AD00: 923C4755
	v_add_u32_e64 v86, v42, s60                                // 00000000AD04: D1340056 0000792A
	v_mov_b32_e32 v87, 0                                       // 00000000AD0C: 7EAE0280
	s_mul_i32 s60, s86, s71                                    // 00000000AD10: 923C4756
	v_add_u32_e64 v88, v42, s60                                // 00000000AD14: D1340058 0000792A
	v_mov_b32_e32 v89, 0                                       // 00000000AD1C: 7EB20280
	s_mul_i32 s60, s87, s71                                    // 00000000AD20: 923C4757
	v_add_u32_e64 v90, v42, s60                                // 00000000AD24: D134005A 0000792A
	v_mov_b32_e32 v91, 0                                       // 00000000AD2C: 7EB60280
	s_mul_i32 s60, s88, s71                                    // 00000000AD30: 923C4758
	v_add_u32_e64 v92, v42, s60                                // 00000000AD34: D134005C 0000792A
	v_mov_b32_e32 v93, 0                                       // 00000000AD3C: 7EBA0280
	s_mul_i32 s60, s89, s71                                    // 00000000AD40: 923C4759
	v_add_u32_e64 v94, v42, s60                                // 00000000AD44: D134005E 0000792A
	v_mov_b32_e32 v95, 0                                       // 00000000AD4C: 7EBE0280
	buffer_load_dword v12, v5, s[16:19], 0 offen               // 00000000AD50: E0501000 80040C05
	v_mov_b32_e32 v22, 0x358637bd                              // 00000000AD58: 7E2C02FF 358637BD
	v_mov_b32_e32 v23, 0x358637bd                              // 00000000AD60: 7E2E02FF 358637BD
	v_max3_f32 v22, |v128|, |v129|, v22                        // 00000000AD68: D1D30316 045B0380
	v_max3_f32 v22, |v130|, |v131|, v22                        // 00000000AD70: D1D30316 045B0782
	v_max3_f32 v23, |v132|, |v133|, v23                        // 00000000AD78: D1D30317 045F0B84
	v_max3_f32 v23, |v134|, |v135|, v23                        // 00000000AD80: D1D30317 045F0F86
	v_max3_f32 v22, |v136|, |v137|, v22                        // 00000000AD88: D1D30316 045B1388
	v_max3_f32 v22, |v138|, |v139|, v22                        // 00000000AD90: D1D30316 045B178A
	v_max3_f32 v23, |v140|, |v141|, v23                        // 00000000AD98: D1D30317 045F1B8C
	v_max3_f32 v23, |v142|, |v143|, v23                        // 00000000ADA0: D1D30317 045F1F8E
	v_max3_f32 v22, |v144|, |v145|, v22                        // 00000000ADA8: D1D30316 045B2390
	v_max3_f32 v22, |v146|, |v147|, v22                        // 00000000ADB0: D1D30316 045B2792
	v_max3_f32 v23, |v148|, |v149|, v23                        // 00000000ADB8: D1D30317 045F2B94
	v_max3_f32 v23, |v150|, |v151|, v23                        // 00000000ADC0: D1D30317 045F2F96
	v_max3_f32 v22, |v152|, |v153|, v22                        // 00000000ADC8: D1D30316 045B3398
	v_max3_f32 v22, |v154|, |v155|, v22                        // 00000000ADD0: D1D30316 045B379A
	v_max3_f32 v23, |v156|, |v157|, v23                        // 00000000ADD8: D1D30317 045F3B9C
	v_max3_f32 v23, |v158|, |v159|, v23                        // 00000000ADE0: D1D30317 045F3F9E
	v_max3_f32 v22, |v160|, |v161|, v22                        // 00000000ADE8: D1D30316 045B43A0
	v_max3_f32 v22, |v162|, |v163|, v22                        // 00000000ADF0: D1D30316 045B47A2
	v_max3_f32 v23, |v164|, |v165|, v23                        // 00000000ADF8: D1D30317 045F4BA4
	v_max3_f32 v23, |v166|, |v167|, v23                        // 00000000AE00: D1D30317 045F4FA6
	v_lshlrev_b32_e32 v42, 3, v0                               // 00000000AE08: 24540083
	s_mul_i32 s60, 0x200, s5                                   // 00000000AE0C: 923C05FF 00000200
	v_add_u32_e32 v42, s60, v42                                // 00000000AE14: 6854543C
	ds_write_b64 v42, v[22:23]                                 // 00000000AE18: D89A0000 0000162A
	s_waitcnt lgkmcnt(0)                                       // 00000000AE20: BF8CC07F
	s_barrier                                                  // 00000000AE24: BF8A0000
	v_and_b32_e32 v42, 15, v0                                  // 00000000AE28: 2654008F
	v_lshlrev_b32_e32 v42, 3, v42                              // 00000000AE2C: 24545483
	ds_read_b64 v[96:97], v42                                  // 00000000AE30: D8EC0000 6000002A
	ds_read_b64 v[98:99], v42 offset:128                       // 00000000AE38: D8EC0080 6200002A
	ds_read_b64 v[100:101], v42 offset:256                     // 00000000AE40: D8EC0100 6400002A
	ds_read_b64 v[102:103], v42 offset:384                     // 00000000AE48: D8EC0180 6600002A
	ds_read_b64 v[104:105], v42 offset:512                     // 00000000AE50: D8EC0200 6800002A
	ds_read_b64 v[106:107], v42 offset:640                     // 00000000AE58: D8EC0280 6A00002A
	ds_read_b64 v[108:109], v42 offset:768                     // 00000000AE60: D8EC0300 6C00002A
	ds_read_b64 v[110:111], v42 offset:896                     // 00000000AE68: D8EC0380 6E00002A
	ds_read_b64 v[112:113], v42 offset:1024                    // 00000000AE70: D8EC0400 7000002A
	ds_read_b64 v[114:115], v42 offset:1152                    // 00000000AE78: D8EC0480 7200002A
	ds_read_b64 v[116:117], v42 offset:1280                    // 00000000AE80: D8EC0500 7400002A
	ds_read_b64 v[118:119], v42 offset:1408                    // 00000000AE88: D8EC0580 7600002A
	ds_read_b64 v[120:121], v42 offset:1536                    // 00000000AE90: D8EC0600 7800002A
	ds_read_b64 v[122:123], v42 offset:1664                    // 00000000AE98: D8EC0680 7A00002A
	ds_read_b64 v[124:125], v42 offset:1792                    // 00000000AEA0: D8EC0700 7C00002A
	ds_read_b64 v[126:127], v42 offset:1920                    // 00000000AEA8: D8EC0780 7E00002A
	s_waitcnt lgkmcnt(0)                                       // 00000000AEB0: BF8CC07F
	v_max3_f32 v22, |v96|, |v98|, v22                          // 00000000AEB4: D1D30316 045AC560
	v_max3_f32 v23, |v97|, |v99|, v23                          // 00000000AEBC: D1D30317 045EC761
	v_max3_f32 v22, |v100|, |v102|, v22                        // 00000000AEC4: D1D30316 045ACD64
	v_max3_f32 v23, |v101|, |v103|, v23                        // 00000000AECC: D1D30317 045ECF65
	v_max3_f32 v22, |v104|, |v106|, v22                        // 00000000AED4: D1D30316 045AD568
	v_max3_f32 v23, |v105|, |v107|, v23                        // 00000000AEDC: D1D30317 045ED769
	v_max3_f32 v22, |v108|, |v110|, v22                        // 00000000AEE4: D1D30316 045ADD6C
	v_max3_f32 v23, |v109|, |v111|, v23                        // 00000000AEEC: D1D30317 045EDF6D
	v_max3_f32 v22, |v112|, |v114|, v22                        // 00000000AEF4: D1D30316 045AE570
	v_max3_f32 v23, |v113|, |v115|, v23                        // 00000000AEFC: D1D30317 045EE771
	v_max3_f32 v22, |v116|, |v118|, v22                        // 00000000AF04: D1D30316 045AED74
	v_max3_f32 v23, |v117|, |v119|, v23                        // 00000000AF0C: D1D30317 045EEF75
	v_max3_f32 v22, |v120|, |v122|, v22                        // 00000000AF14: D1D30316 045AF578
	v_max3_f32 v23, |v121|, |v123|, v23                        // 00000000AF1C: D1D30317 045EF779
	v_max3_f32 v22, |v124|, |v126|, v22                        // 00000000AF24: D1D30316 045AFD7C
	v_max3_f32 v23, |v125|, |v127|, v23                        // 00000000AF2C: D1D30317 045EFF7D
	v_rcp_f32_e32 v22, v22                                     // 00000000AF34: 7E2C4516
	v_rcp_f32_e32 v23, v23                                     // 00000000AF38: 7E2E4517
	v_mov_b32_e32 v42, 0x42fe0000                              // 00000000AF3C: 7E5402FF 42FE0000
	v_mul_f32_e32 v22, v42, v22                                // 00000000AF44: 0A2C2D2A
	v_mul_f32_e32 v23, v42, v23                                // 00000000AF48: 0A2E2F2A
	v_mul_f32_e32 v128, v22, v128                              // 00000000AF4C: 0B010116
	v_mul_f32_e32 v129, v22, v129                              // 00000000AF50: 0B030316
	v_mul_f32_e32 v130, v22, v130                              // 00000000AF54: 0B050516
	v_mul_f32_e32 v131, v22, v131                              // 00000000AF58: 0B070716
	v_cvt_i32_f32_e32 v128, v128                               // 00000000AF5C: 7F001180
	v_cvt_i32_f32_e32 v129, v129                               // 00000000AF60: 7F021181
	v_cvt_i32_f32_e32 v130, v130                               // 00000000AF64: 7F041182
	v_cvt_i32_f32_e32 v131, v131                               // 00000000AF68: 7F061183
	v_perm_b32 v128, v129, v128, s53                           // 00000000AF6C: D1ED0080 00D70181
	v_perm_b32 v128, v130, v128, s54                           // 00000000AF74: D1ED0080 00DB0182
	v_perm_b32 v128, v131, v128, s55                           // 00000000AF7C: D1ED0080 00DF0183
	v_mul_f32_e32 v132, v23, v132                              // 00000000AF84: 0B090917
	v_mul_f32_e32 v133, v23, v133                              // 00000000AF88: 0B0B0B17
	v_mul_f32_e32 v134, v23, v134                              // 00000000AF8C: 0B0D0D17
	v_mul_f32_e32 v135, v23, v135                              // 00000000AF90: 0B0F0F17
	v_cvt_i32_f32_e32 v132, v132                               // 00000000AF94: 7F081184
	v_cvt_i32_f32_e32 v133, v133                               // 00000000AF98: 7F0A1185
	v_cvt_i32_f32_e32 v134, v134                               // 00000000AF9C: 7F0C1186
	v_cvt_i32_f32_e32 v135, v135                               // 00000000AFA0: 7F0E1187
	v_perm_b32 v129, v133, v132, s53                           // 00000000AFA4: D1ED0081 00D70985
	v_perm_b32 v129, v134, v129, s54                           // 00000000AFAC: D1ED0081 00DB0386
	v_perm_b32 v129, v135, v129, s55                           // 00000000AFB4: D1ED0081 00DF0387
	v_mul_f32_e32 v136, v22, v136                              // 00000000AFBC: 0B111116
	v_mul_f32_e32 v137, v22, v137                              // 00000000AFC0: 0B131316
	v_mul_f32_e32 v138, v22, v138                              // 00000000AFC4: 0B151516
	v_mul_f32_e32 v139, v22, v139                              // 00000000AFC8: 0B171716
	v_cvt_i32_f32_e32 v136, v136                               // 00000000AFCC: 7F101188
	v_cvt_i32_f32_e32 v137, v137                               // 00000000AFD0: 7F121189
	v_cvt_i32_f32_e32 v138, v138                               // 00000000AFD4: 7F14118A
	v_cvt_i32_f32_e32 v139, v139                               // 00000000AFD8: 7F16118B
	v_perm_b32 v130, v137, v136, s53                           // 00000000AFDC: D1ED0082 00D71189
	v_perm_b32 v130, v138, v130, s54                           // 00000000AFE4: D1ED0082 00DB058A
	v_perm_b32 v130, v139, v130, s55                           // 00000000AFEC: D1ED0082 00DF058B
	v_mul_f32_e32 v140, v23, v140                              // 00000000AFF4: 0B191917
	v_mul_f32_e32 v141, v23, v141                              // 00000000AFF8: 0B1B1B17
	v_mul_f32_e32 v142, v23, v142                              // 00000000AFFC: 0B1D1D17
	v_mul_f32_e32 v143, v23, v143                              // 00000000B000: 0B1F1F17
	v_cvt_i32_f32_e32 v140, v140                               // 00000000B004: 7F18118C
	v_cvt_i32_f32_e32 v141, v141                               // 00000000B008: 7F1A118D
	v_cvt_i32_f32_e32 v142, v142                               // 00000000B00C: 7F1C118E
	v_cvt_i32_f32_e32 v143, v143                               // 00000000B010: 7F1E118F
	v_perm_b32 v131, v141, v140, s53                           // 00000000B014: D1ED0083 00D7198D
	v_perm_b32 v131, v142, v131, s54                           // 00000000B01C: D1ED0083 00DB078E
	v_perm_b32 v131, v143, v131, s55                           // 00000000B024: D1ED0083 00DF078F
	v_mul_f32_e32 v144, v22, v144                              // 00000000B02C: 0B212116
	v_mul_f32_e32 v145, v22, v145                              // 00000000B030: 0B232316
	v_mul_f32_e32 v146, v22, v146                              // 00000000B034: 0B252516
	v_mul_f32_e32 v147, v22, v147                              // 00000000B038: 0B272716
	v_cvt_i32_f32_e32 v144, v144                               // 00000000B03C: 7F201190
	v_cvt_i32_f32_e32 v145, v145                               // 00000000B040: 7F221191
	v_cvt_i32_f32_e32 v146, v146                               // 00000000B044: 7F241192
	v_cvt_i32_f32_e32 v147, v147                               // 00000000B048: 7F261193
	v_perm_b32 v132, v145, v144, s53                           // 00000000B04C: D1ED0084 00D72191
	v_perm_b32 v132, v146, v132, s54                           // 00000000B054: D1ED0084 00DB0992
	v_perm_b32 v132, v147, v132, s55                           // 00000000B05C: D1ED0084 00DF0993
	v_mul_f32_e32 v148, v23, v148                              // 00000000B064: 0B292917
	v_mul_f32_e32 v149, v23, v149                              // 00000000B068: 0B2B2B17
	v_mul_f32_e32 v150, v23, v150                              // 00000000B06C: 0B2D2D17
	v_mul_f32_e32 v151, v23, v151                              // 00000000B070: 0B2F2F17
	v_cvt_i32_f32_e32 v148, v148                               // 00000000B074: 7F281194
	v_cvt_i32_f32_e32 v149, v149                               // 00000000B078: 7F2A1195
	v_cvt_i32_f32_e32 v150, v150                               // 00000000B07C: 7F2C1196
	v_cvt_i32_f32_e32 v151, v151                               // 00000000B080: 7F2E1197
	v_perm_b32 v133, v149, v148, s53                           // 00000000B084: D1ED0085 00D72995
	v_perm_b32 v133, v150, v133, s54                           // 00000000B08C: D1ED0085 00DB0B96
	v_perm_b32 v133, v151, v133, s55                           // 00000000B094: D1ED0085 00DF0B97
	v_mul_f32_e32 v152, v22, v152                              // 00000000B09C: 0B313116
	v_mul_f32_e32 v153, v22, v153                              // 00000000B0A0: 0B333316
	v_mul_f32_e32 v154, v22, v154                              // 00000000B0A4: 0B353516
	v_mul_f32_e32 v155, v22, v155                              // 00000000B0A8: 0B373716
	v_cvt_i32_f32_e32 v152, v152                               // 00000000B0AC: 7F301198
	v_cvt_i32_f32_e32 v153, v153                               // 00000000B0B0: 7F321199
	v_cvt_i32_f32_e32 v154, v154                               // 00000000B0B4: 7F34119A
	v_cvt_i32_f32_e32 v155, v155                               // 00000000B0B8: 7F36119B
	v_perm_b32 v134, v153, v152, s53                           // 00000000B0BC: D1ED0086 00D73199
	v_perm_b32 v134, v154, v134, s54                           // 00000000B0C4: D1ED0086 00DB0D9A
	v_perm_b32 v134, v155, v134, s55                           // 00000000B0CC: D1ED0086 00DF0D9B
	v_mul_f32_e32 v156, v23, v156                              // 00000000B0D4: 0B393917
	v_mul_f32_e32 v157, v23, v157                              // 00000000B0D8: 0B3B3B17
	v_mul_f32_e32 v158, v23, v158                              // 00000000B0DC: 0B3D3D17
	v_mul_f32_e32 v159, v23, v159                              // 00000000B0E0: 0B3F3F17
	v_cvt_i32_f32_e32 v156, v156                               // 00000000B0E4: 7F38119C
	v_cvt_i32_f32_e32 v157, v157                               // 00000000B0E8: 7F3A119D
	v_cvt_i32_f32_e32 v158, v158                               // 00000000B0EC: 7F3C119E
	v_cvt_i32_f32_e32 v159, v159                               // 00000000B0F0: 7F3E119F
	v_perm_b32 v135, v157, v156, s53                           // 00000000B0F4: D1ED0087 00D7399D
	v_perm_b32 v135, v158, v135, s54                           // 00000000B0FC: D1ED0087 00DB0F9E
	v_perm_b32 v135, v159, v135, s55                           // 00000000B104: D1ED0087 00DF0F9F
	v_mul_f32_e32 v160, v22, v160                              // 00000000B10C: 0B414116
	v_mul_f32_e32 v161, v22, v161                              // 00000000B110: 0B434316
	v_mul_f32_e32 v162, v22, v162                              // 00000000B114: 0B454516
	v_mul_f32_e32 v163, v22, v163                              // 00000000B118: 0B474716
	v_cvt_i32_f32_e32 v160, v160                               // 00000000B11C: 7F4011A0
	v_cvt_i32_f32_e32 v161, v161                               // 00000000B120: 7F4211A1
	v_cvt_i32_f32_e32 v162, v162                               // 00000000B124: 7F4411A2
	v_cvt_i32_f32_e32 v163, v163                               // 00000000B128: 7F4611A3
	v_perm_b32 v136, v161, v160, s53                           // 00000000B12C: D1ED0088 00D741A1
	v_perm_b32 v136, v162, v136, s54                           // 00000000B134: D1ED0088 00DB11A2
	v_perm_b32 v136, v163, v136, s55                           // 00000000B13C: D1ED0088 00DF11A3
	v_mul_f32_e32 v164, v23, v164                              // 00000000B144: 0B494917
	v_mul_f32_e32 v165, v23, v165                              // 00000000B148: 0B4B4B17
	v_mul_f32_e32 v166, v23, v166                              // 00000000B14C: 0B4D4D17
	v_mul_f32_e32 v167, v23, v167                              // 00000000B150: 0B4F4F17
	v_cvt_i32_f32_e32 v164, v164                               // 00000000B154: 7F4811A4
	v_cvt_i32_f32_e32 v165, v165                               // 00000000B158: 7F4A11A5
	v_cvt_i32_f32_e32 v166, v166                               // 00000000B15C: 7F4C11A6
	v_cvt_i32_f32_e32 v167, v167                               // 00000000B160: 7F4E11A7
	v_perm_b32 v137, v165, v164, s53                           // 00000000B164: D1ED0089 00D749A5
	v_perm_b32 v137, v166, v137, s54                           // 00000000B16C: D1ED0089 00DB13A6
	v_perm_b32 v137, v167, v137, s55                           // 00000000B174: D1ED0089 00DF13A7
	v_rcp_f32_e32 v24, v22                                     // 00000000B17C: 7E304516
	v_rcp_f32_e32 v25, v23                                     // 00000000B180: 7E324517
	v_lshrrev_b32_e32 v42, 5, v0                               // 00000000B184: 20540085
	v_lshlrev_b32_e32 v43, 5, v42                              // 00000000B188: 24565485
	v_and_b32_e32 v42, 31, v0                                  // 00000000B18C: 2654009F
	v_lshrrev_b32_e32 v44, 4, v42                              // 00000000B190: 20585484
	v_add_u32_e32 v43, v44, v43                                // 00000000B194: 6856572C
	v_and_b32_e32 v42, 15, v0                                  // 00000000B198: 2654008F
	v_lshlrev_b32_e32 v42, 1, v42                              // 00000000B19C: 24545481
	v_add_u32_e32 v43, v42, v43                                // 00000000B1A0: 6856572A
	v_lshlrev_b32_e32 v42, 2, v43                              // 00000000B1A4: 24545682
	s_mul_i32 s60, 0x100, s5                                   // 00000000B1A8: 923C05FF 00000100
	v_add_u32_e64 v42, v42, s60                                // 00000000B1B0: D134002A 0000792A
	ds_write_b32 v42, v128 offset:2048                         // 00000000B1B8: D81A0800 0000802A
	ds_write_b32 v42, v129 offset:7168                         // 00000000B1C0: D81A1C00 0000812A
	ds_write_b32 v42, v130 offset:3072                         // 00000000B1C8: D81A0C00 0000822A
	ds_write_b32 v42, v131 offset:8192                         // 00000000B1D0: D81A2000 0000832A
	ds_write_b32 v42, v132 offset:4096                         // 00000000B1D8: D81A1000 0000842A
	ds_write_b32 v42, v133 offset:9216                         // 00000000B1E0: D81A2400 0000852A
	ds_write_b32 v42, v134 offset:5120                         // 00000000B1E8: D81A1400 0000862A
	ds_write_b32 v42, v135 offset:10240                        // 00000000B1F0: D81A2800 0000872A
	ds_write_b32 v42, v136 offset:6144                         // 00000000B1F8: D81A1800 0000882A
	ds_write_b32 v42, v137 offset:11264                        // 00000000B200: D81A2C00 0000892A
	s_waitcnt lgkmcnt(0)                                       // 00000000B208: BF8CC07F
	s_barrier                                                  // 00000000B20C: BF8A0000
	v_lshrrev_b32_e32 v42, 4, v0                               // 00000000B210: 20540084
	v_lshlrev_b32_e32 v43, 6, v42                              // 00000000B214: 24565486
	v_and_b32_e32 v42, 15, v0                                  // 00000000B218: 2654008F
	v_lshlrev_b32_e32 v42, 1, v42                              // 00000000B21C: 24545481
	v_add_u32_e32 v43, v42, v43                                // 00000000B220: 6856572A
	v_lshlrev_b32_e32 v42, 2, v43                              // 00000000B224: 24545682
	ds_read_b64 v[128:129], v42 offset:2048                    // 00000000B228: D8EC0800 8000002A
	ds_read_b64 v[130:131], v42 offset:2176                    // 00000000B230: D8EC0880 8200002A
	ds_read_b64 v[132:133], v42 offset:3072                    // 00000000B238: D8EC0C00 8400002A
	ds_read_b64 v[134:135], v42 offset:3200                    // 00000000B240: D8EC0C80 8600002A
	ds_read_b64 v[136:137], v42 offset:4096                    // 00000000B248: D8EC1000 8800002A
	ds_read_b64 v[138:139], v42 offset:4224                    // 00000000B250: D8EC1080 8A00002A
	ds_read_b64 v[140:141], v42 offset:5120                    // 00000000B258: D8EC1400 8C00002A
	ds_read_b64 v[142:143], v42 offset:5248                    // 00000000B260: D8EC1480 8E00002A
	ds_read_b64 v[144:145], v42 offset:6144                    // 00000000B268: D8EC1800 9000002A
	ds_read_b64 v[146:147], v42 offset:6272                    // 00000000B270: D8EC1880 9200002A
	ds_read_b64 v[148:149], v42 offset:7168                    // 00000000B278: D8EC1C00 9400002A
	ds_read_b64 v[150:151], v42 offset:7296                    // 00000000B280: D8EC1C80 9600002A
	ds_read_b64 v[152:153], v42 offset:8192                    // 00000000B288: D8EC2000 9800002A
	ds_read_b64 v[154:155], v42 offset:8320                    // 00000000B290: D8EC2080 9A00002A
	ds_read_b64 v[156:157], v42 offset:9216                    // 00000000B298: D8EC2400 9C00002A
	ds_read_b64 v[158:159], v42 offset:9344                    // 00000000B2A0: D8EC2480 9E00002A
	ds_read_b64 v[160:161], v42 offset:10240                   // 00000000B2A8: D8EC2800 A000002A
	ds_read_b64 v[162:163], v42 offset:10368                   // 00000000B2B0: D8EC2880 A200002A
	ds_read_b64 v[164:165], v42 offset:11264                   // 00000000B2B8: D8EC2C00 A400002A
	ds_read_b64 v[166:167], v42 offset:11392                   // 00000000B2C0: D8EC2C80 A600002A
	s_add_u32 s12, s56, s12                                    // 00000000B2C8: 800C0C38
	s_addc_u32 s13, 0, s13                                     // 00000000B2CC: 820D0D80
	s_add_u32 s16, s79, s16                                    // 00000000B2D0: 8010104F
	s_addc_u32 s17, 0, s17                                     // 00000000B2D4: 82111180
	s_waitcnt lgkmcnt(0)                                       // 00000000B2D8: BF8CC07F
	s_barrier                                                  // 00000000B2DC: BF8A0000
	v_mov_b32_e32 v168, 0                                      // 00000000B2E0: 7F500280
	v_mov_b32_e32 v200, 0                                      // 00000000B2E4: 7F900280
	v_mov_b32_e32 v169, 0                                      // 00000000B2E8: 7F520280
	v_mov_b32_e32 v201, 0                                      // 00000000B2EC: 7F920280
	v_mov_b32_e32 v170, 0                                      // 00000000B2F0: 7F540280
	v_mov_b32_e32 v202, 0                                      // 00000000B2F4: 7F940280
	v_mov_b32_e32 v171, 0                                      // 00000000B2F8: 7F560280
	v_mov_b32_e32 v203, 0                                      // 00000000B2FC: 7F960280
	v_mov_b32_e32 v172, 0                                      // 00000000B300: 7F580280
	v_mov_b32_e32 v204, 0                                      // 00000000B304: 7F980280
	v_mov_b32_e32 v173, 0                                      // 00000000B308: 7F5A0280
	v_mov_b32_e32 v205, 0                                      // 00000000B30C: 7F9A0280
	v_mov_b32_e32 v174, 0                                      // 00000000B310: 7F5C0280
	v_mov_b32_e32 v206, 0                                      // 00000000B314: 7F9C0280
	v_mov_b32_e32 v175, 0                                      // 00000000B318: 7F5E0280
	v_mov_b32_e32 v207, 0                                      // 00000000B31C: 7F9E0280
	v_mov_b32_e32 v176, 0                                      // 00000000B320: 7F600280
	v_mov_b32_e32 v208, 0                                      // 00000000B324: 7FA00280
	v_mov_b32_e32 v177, 0                                      // 00000000B328: 7F620280
	v_mov_b32_e32 v209, 0                                      // 00000000B32C: 7FA20280
	v_mov_b32_e32 v178, 0                                      // 00000000B330: 7F640280
	v_mov_b32_e32 v210, 0                                      // 00000000B334: 7FA40280
	v_mov_b32_e32 v179, 0                                      // 00000000B338: 7F660280
	v_mov_b32_e32 v211, 0                                      // 00000000B33C: 7FA60280
	v_mov_b32_e32 v180, 0                                      // 00000000B340: 7F680280
	v_mov_b32_e32 v212, 0                                      // 00000000B344: 7FA80280
	v_mov_b32_e32 v181, 0                                      // 00000000B348: 7F6A0280
	v_mov_b32_e32 v213, 0                                      // 00000000B34C: 7FAA0280
	v_mov_b32_e32 v182, 0                                      // 00000000B350: 7F6C0280
	v_mov_b32_e32 v214, 0                                      // 00000000B354: 7FAC0280
	v_mov_b32_e32 v183, 0                                      // 00000000B358: 7F6E0280
	v_mov_b32_e32 v215, 0                                      // 00000000B35C: 7FAE0280
	ds_write_b64 v3, v[168:169] offset:2048                    // 00000000B360: D89A0800 0000A803
	ds_write_b64 v3, v[170:171] offset:10752                   // 00000000B368: D89A2A00 0000AA03
	ds_write_b64 v3, v[172:173] offset:4224                    // 00000000B370: D89A1080 0000AC03
	ds_write_b64 v3, v[174:175] offset:12928                   // 00000000B378: D89A3280 0000AE03
	ds_write_b64 v3, v[176:177] offset:6400                    // 00000000B380: D89A1900 0000B003
	ds_write_b64 v3, v[178:179] offset:15104                   // 00000000B388: D89A3B00 0000B203
	ds_write_b64 v3, v[180:181] offset:8576                    // 00000000B390: D89A2180 0000B403
	ds_write_b64 v3, v[182:183] offset:17280                   // 00000000B398: D89A4380 0000B603
	s_mov_b32 s80, 0                                           // 00000000B3A0: BED00080
	s_waitcnt vmcnt(0) expcnt(0) lgkmcnt(0)                    // 00000000B3A4: BF8C0000

000000000000b3a8 <label_216A>:
	s_waitcnt vmcnt(33) lgkmcnt(0)                             // 00000000B3A8: BF8C8071
	s_barrier                                                  // 00000000B3AC: BF8A0000
	v_mfma_i32_16x16x32_i8 v[168:171], a[0:1], v[128:129], 0   // 00000000B3B0: D3D700A8 0A030100
	buffer_load_dwordx4 a[80:83], v46, s[12:15], 0 offen       // 00000000B3B8: E05C1000 8083502E
	v_mfma_i32_16x16x32_i8 v[168:171], a[2:3], v[130:131], v[168:171]// 00000000B3C0: D3D700A8 0EA30502
	ds_read_b32 v64, v4 offset:2048                            // 00000000B3C8: D86C0800 40000004
	ds_read_b32 v65, v4 offset:6400                            // 00000000B3D0: D86C1900 41000004
	v_mfma_i32_16x16x32_i8 v[172:175], a[0:1], v[148:149], 0   // 00000000B3D8: D3D700AC 0A032900
	v_mfma_i32_16x16x32_i8 v[172:175], a[2:3], v[150:151], v[172:175]// 00000000B3E0: D3D700AC 0EB32D02
	ds_read_b32 v66, v4 offset:2080                            // 00000000B3E8: D86C0820 42000004
	ds_read_b32 v67, v4 offset:6432                            // 00000000B3F0: D86C1920 43000004
	v_mfma_i32_16x16x32_i8 v[176:179], a[4:5], v[128:129], 0   // 00000000B3F8: D3D700B0 0A030104
	buffer_load_dwordx4 a[84:87], v47, s[12:15], 0 offen       // 00000000B400: E05C1000 8083542F
	v_mfma_i32_16x16x32_i8 v[176:179], a[6:7], v[130:131], v[176:179]// 00000000B408: D3D700B0 0EC30506
	ds_read_b32 v68, v4 offset:2112                            // 00000000B410: D86C0840 44000004
	ds_read_b32 v69, v4 offset:6464                            // 00000000B418: D86C1940 45000004
	v_mfma_i32_16x16x32_i8 v[180:183], a[4:5], v[148:149], 0   // 00000000B420: D3D700B4 0A032904
	v_mfma_i32_16x16x32_i8 v[180:183], a[6:7], v[150:151], v[180:183]// 00000000B428: D3D700B4 0ED32D06
	ds_read_b32 v70, v4 offset:2144                            // 00000000B430: D86C0860 46000004
	ds_read_b32 v71, v4 offset:6496                            // 00000000B438: D86C1960 47000004
	v_mfma_i32_16x16x32_i8 v[184:187], a[8:9], v[128:129], 0   // 00000000B440: D3D700B8 0A030108
	buffer_load_dwordx4 a[88:91], v48, s[12:15], 0 offen       // 00000000B448: E05C1000 80835830
	v_mfma_i32_16x16x32_i8 v[184:187], a[10:11], v[130:131], v[184:187]// 00000000B450: D3D700B8 0EE3050A
	ds_read_b32 v72, v4 offset:10752                           // 00000000B458: D86C2A00 48000004
	ds_read_b32 v73, v4 offset:15104                           // 00000000B460: D86C3B00 49000004
	v_mfma_i32_16x16x32_i8 v[188:191], a[8:9], v[148:149], 0   // 00000000B468: D3D700BC 0A032908
	v_mfma_i32_16x16x32_i8 v[188:191], a[10:11], v[150:151], v[188:191]// 00000000B470: D3D700BC 0EF32D0A
	ds_read_b32 v74, v4 offset:10784                           // 00000000B478: D86C2A20 4A000004
	ds_read_b32 v75, v4 offset:15136                           // 00000000B480: D86C3B20 4B000004
	v_mfma_i32_16x16x32_i8 v[192:195], a[12:13], v[128:129], 0 // 00000000B488: D3D700C0 0A03010C
	buffer_load_dwordx4 a[92:95], v49, s[12:15], 0 offen       // 00000000B490: E05C1000 80835C31
	s_add_u32 s12, s78, s12                                    // 00000000B498: 800C0C4E
	s_addc_u32 s13, 0, s13                                     // 00000000B49C: 820D0D80
	v_mfma_i32_16x16x32_i8 v[192:195], a[14:15], v[130:131], v[192:195]// 00000000B4A0: D3D700C0 0F03050E
	ds_read_b32 v76, v4 offset:10816                           // 00000000B4A8: D86C2A40 4C000004
	ds_read_b32 v77, v4 offset:15168                           // 00000000B4B0: D86C3B40 4D000004
	v_mfma_i32_16x16x32_i8 v[196:199], a[12:13], v[148:149], 0 // 00000000B4B8: D3D700C4 0A03290C
	v_mfma_i32_16x16x32_i8 v[196:199], a[14:15], v[150:151], v[196:199]// 00000000B4C0: D3D700C4 0F132D0E
	ds_read_b32 v78, v4 offset:10848                           // 00000000B4C8: D86C2A60 4E000004
	ds_read_b32 v79, v4 offset:15200                           // 00000000B4D0: D86C3B60 4F000004
	s_waitcnt vmcnt(33)                                        // 00000000B4D8: BF8C8F71
	v_mfma_i32_16x16x32_i8 v[168:171], a[16:17], v[132:133], v[168:171]// 00000000B4DC: D3D700A8 0EA30910
	buffer_load_dwordx4 a[96:99], v46, s[12:15], 0 offen       // 00000000B4E4: E05C1000 8083602E
	v_mfma_i32_16x16x32_i8 v[168:171], a[18:19], v[134:135], v[168:171]// 00000000B4EC: D3D700A8 0EA30D12
	v_mfma_i32_16x16x32_i8 v[172:175], a[16:17], v[152:153], v[172:175]// 00000000B4F4: D3D700AC 0EB33110
	v_mfma_i32_16x16x32_i8 v[172:175], a[18:19], v[154:155], v[172:175]// 00000000B4FC: D3D700AC 0EB33512
	v_mfma_i32_16x16x32_i8 v[176:179], a[20:21], v[132:133], v[176:179]// 00000000B504: D3D700B0 0EC30914
	buffer_load_dwordx4 a[100:103], v47, s[12:15], 0 offen     // 00000000B50C: E05C1000 8083642F
	v_mfma_i32_16x16x32_i8 v[176:179], a[22:23], v[134:135], v[176:179]// 00000000B514: D3D700B0 0EC30D16
	v_mfma_i32_16x16x32_i8 v[180:183], a[20:21], v[152:153], v[180:183]// 00000000B51C: D3D700B4 0ED33114
	v_mfma_i32_16x16x32_i8 v[180:183], a[22:23], v[154:155], v[180:183]// 00000000B524: D3D700B4 0ED33516
	v_mfma_i32_16x16x32_i8 v[184:187], a[24:25], v[132:133], v[184:187]// 00000000B52C: D3D700B8 0EE30918
	buffer_load_dwordx4 a[104:107], v48, s[12:15], 0 offen     // 00000000B534: E05C1000 80836830
	v_mfma_i32_16x16x32_i8 v[184:187], a[26:27], v[134:135], v[184:187]// 00000000B53C: D3D700B8 0EE30D1A
	v_mfma_i32_16x16x32_i8 v[188:191], a[24:25], v[152:153], v[188:191]// 00000000B544: D3D700BC 0EF33118
	v_mfma_i32_16x16x32_i8 v[188:191], a[26:27], v[154:155], v[188:191]// 00000000B54C: D3D700BC 0EF3351A
	v_mfma_i32_16x16x32_i8 v[192:195], a[28:29], v[132:133], v[192:195]// 00000000B554: D3D700C0 0F03091C
	buffer_load_dwordx4 a[108:111], v49, s[12:15], 0 offen     // 00000000B55C: E05C1000 80836C31
	s_add_u32 s12, s78, s12                                    // 00000000B564: 800C0C4E
	s_addc_u32 s13, 0, s13                                     // 00000000B568: 820D0D80
	v_mfma_i32_16x16x32_i8 v[192:195], a[30:31], v[134:135], v[192:195]// 00000000B56C: D3D700C0 0F030D1E
	v_mfma_i32_16x16x32_i8 v[196:199], a[28:29], v[152:153], v[196:199]// 00000000B574: D3D700C4 0F13311C
	v_mfma_i32_16x16x32_i8 v[196:199], a[30:31], v[154:155], v[196:199]// 00000000B57C: D3D700C4 0F13351E
	s_waitcnt vmcnt(33)                                        // 00000000B584: BF8C8F71
	v_mfma_i32_16x16x32_i8 v[168:171], a[32:33], v[136:137], v[168:171]// 00000000B588: D3D700A8 0EA31120
	buffer_load_dwordx4 a[112:115], v46, s[12:15], 0 offen     // 00000000B590: E05C1000 8083702E
	v_mfma_i32_16x16x32_i8 v[168:171], a[34:35], v[138:139], v[168:171]// 00000000B598: D3D700A8 0EA31522
	ds_write_b64 v3, v[200:201] offset:19456                   // 00000000B5A0: D89A4C00 0000C803
	v_mfma_i32_16x16x32_i8 v[172:175], a[32:33], v[156:157], v[172:175]// 00000000B5A8: D3D700AC 0EB33920
	v_mfma_i32_16x16x32_i8 v[172:175], a[34:35], v[158:159], v[172:175]// 00000000B5B0: D3D700AC 0EB33D22
	ds_write_b64 v3, v[202:203] offset:28160                   // 00000000B5B8: D89A6E00 0000CA03
	v_mfma_i32_16x16x32_i8 v[176:179], a[36:37], v[136:137], v[176:179]// 00000000B5C0: D3D700B0 0EC31124
	buffer_load_dwordx4 a[116:119], v47, s[12:15], 0 offen     // 00000000B5C8: E05C1000 8083742F
	v_mfma_i32_16x16x32_i8 v[176:179], a[38:39], v[138:139], v[176:179]// 00000000B5D0: D3D700B0 0EC31526
	ds_write_b64 v3, v[204:205] offset:21632                   // 00000000B5D8: D89A5480 0000CC03
	v_mfma_i32_16x16x32_i8 v[180:183], a[36:37], v[156:157], v[180:183]// 00000000B5E0: D3D700B4 0ED33924
	v_mfma_i32_16x16x32_i8 v[180:183], a[38:39], v[158:159], v[180:183]// 00000000B5E8: D3D700B4 0ED33D26
	ds_write_b64 v3, v[206:207] offset:30336                   // 00000000B5F0: D89A7680 0000CE03
	v_mfma_i32_16x16x32_i8 v[184:187], a[40:41], v[136:137], v[184:187]// 00000000B5F8: D3D700B8 0EE31128
	buffer_load_dwordx4 a[120:123], v48, s[12:15], 0 offen     // 00000000B600: E05C1000 80837830
	v_mfma_i32_16x16x32_i8 v[184:187], a[42:43], v[138:139], v[184:187]// 00000000B608: D3D700B8 0EE3152A
	ds_write_b64 v3, v[208:209] offset:23808                   // 00000000B610: D89A5D00 0000D003
	v_mfma_i32_16x16x32_i8 v[188:191], a[40:41], v[156:157], v[188:191]// 00000000B618: D3D700BC 0EF33928
	v_mfma_i32_16x16x32_i8 v[188:191], a[42:43], v[158:159], v[188:191]// 00000000B620: D3D700BC 0EF33D2A
	ds_write_b64 v3, v[210:211] offset:32512                   // 00000000B628: D89A7F00 0000D203
	v_mfma_i32_16x16x32_i8 v[192:195], a[44:45], v[136:137], v[192:195]// 00000000B630: D3D700C0 0F03112C
	buffer_load_dwordx4 a[124:127], v49, s[12:15], 0 offen     // 00000000B638: E05C1000 80837C31
	s_add_u32 s12, s78, s12                                    // 00000000B640: 800C0C4E
	s_addc_u32 s13, 0, s13                                     // 00000000B644: 820D0D80
	v_mfma_i32_16x16x32_i8 v[192:195], a[46:47], v[138:139], v[192:195]// 00000000B648: D3D700C0 0F03152E
	ds_write_b64 v3, v[212:213] offset:25984                   // 00000000B650: D89A6580 0000D403
	v_mfma_i32_16x16x32_i8 v[196:199], a[44:45], v[156:157], v[196:199]// 00000000B658: D3D700C4 0F13392C
	v_mfma_i32_16x16x32_i8 v[196:199], a[46:47], v[158:159], v[196:199]// 00000000B660: D3D700C4 0F133D2E
	ds_write_b64 v3, v[214:215] offset:34688                   // 00000000B668: D89A8780 0000D603
	s_waitcnt vmcnt(33)                                        // 00000000B670: BF8C8F71
	v_mfma_i32_16x16x32_i8 v[168:171], a[48:49], v[140:141], v[168:171]// 00000000B674: D3D700A8 0EA31930
	buffer_load_dwordx4 a[128:131], v46, s[12:15], 0 offen     // 00000000B67C: E05C1000 8083802E
	v_mfma_i32_16x16x32_i8 v[168:171], a[50:51], v[142:143], v[168:171]// 00000000B684: D3D700A8 0EA31D32
	v_mfma_i32_16x16x32_i8 v[172:175], a[48:49], v[160:161], v[172:175]// 00000000B68C: D3D700AC 0EB34130
	v_mfma_i32_16x16x32_i8 v[172:175], a[50:51], v[162:163], v[172:175]// 00000000B694: D3D700AC 0EB34532
	v_mfma_i32_16x16x32_i8 v[176:179], a[52:53], v[140:141], v[176:179]// 00000000B69C: D3D700B0 0EC31934
	buffer_load_dwordx4 a[132:135], v47, s[12:15], 0 offen     // 00000000B6A4: E05C1000 8083842F
	v_mfma_i32_16x16x32_i8 v[176:179], a[54:55], v[142:143], v[176:179]// 00000000B6AC: D3D700B0 0EC31D36
	v_mfma_i32_16x16x32_i8 v[180:183], a[52:53], v[160:161], v[180:183]// 00000000B6B4: D3D700B4 0ED34134
	v_mfma_i32_16x16x32_i8 v[180:183], a[54:55], v[162:163], v[180:183]// 00000000B6BC: D3D700B4 0ED34536
	v_mfma_i32_16x16x32_i8 v[184:187], a[56:57], v[140:141], v[184:187]// 00000000B6C4: D3D700B8 0EE31938
	buffer_load_dwordx4 a[136:139], v48, s[12:15], 0 offen     // 00000000B6CC: E05C1000 80838830
	v_mfma_i32_16x16x32_i8 v[184:187], a[58:59], v[142:143], v[184:187]// 00000000B6D4: D3D700B8 0EE31D3A
	v_mfma_i32_16x16x32_i8 v[188:191], a[56:57], v[160:161], v[188:191]// 00000000B6DC: D3D700BC 0EF34138
	v_mfma_i32_16x16x32_i8 v[188:191], a[58:59], v[162:163], v[188:191]// 00000000B6E4: D3D700BC 0EF3453A
	v_mfma_i32_16x16x32_i8 v[192:195], a[60:61], v[140:141], v[192:195]// 00000000B6EC: D3D700C0 0F03193C
	buffer_load_dwordx4 a[140:143], v49, s[12:15], 0 offen     // 00000000B6F4: E05C1000 80838C31
	s_add_u32 s12, s78, s12                                    // 00000000B6FC: 800C0C4E
	s_addc_u32 s13, 0, s13                                     // 00000000B700: 820D0D80
	v_mfma_i32_16x16x32_i8 v[192:195], a[62:63], v[142:143], v[192:195]// 00000000B704: D3D700C0 0F031D3E
	v_mfma_i32_16x16x32_i8 v[196:199], a[60:61], v[160:161], v[196:199]// 00000000B70C: D3D700C4 0F13413C
	v_mfma_i32_16x16x32_i8 v[196:199], a[62:63], v[162:163], v[196:199]// 00000000B714: D3D700C4 0F13453E
	s_waitcnt vmcnt(32)                                        // 00000000B71C: BF8C8F70
	v_mfma_i32_16x16x32_i8 v[168:171], a[64:65], v[144:145], v[168:171]// 00000000B720: D3D700A8 0EA32140
	buffer_load_dwordx4 a[144:147], v46, s[12:15], 0 offen     // 00000000B728: E05C1000 8083902E
	v_mfma_i32_16x16x32_i8 v[168:171], a[66:67], v[146:147], v[168:171]// 00000000B730: D3D700A8 0EA32542
	v_mfma_i32_16x16x32_i8 v[172:175], a[64:65], v[164:165], v[172:175]// 00000000B738: D3D700AC 0EB34940
	buffer_load_dword v13, v5, s[16:19], 0 offen               // 00000000B740: E0501000 80040D05
	v_mfma_i32_16x16x32_i8 v[172:175], a[66:67], v[166:167], v[172:175]// 00000000B748: D3D700AC 0EB34D42
	v_mfma_i32_16x16x32_i8 v[176:179], a[68:69], v[144:145], v[176:179]// 00000000B750: D3D700B0 0EC32144
	buffer_load_dwordx4 a[148:151], v47, s[12:15], 0 offen     // 00000000B758: E05C1000 8083942F
	v_mfma_i32_16x16x32_i8 v[176:179], a[70:71], v[146:147], v[176:179]// 00000000B760: D3D700B0 0EC32546
	v_mfma_i32_16x16x32_i8 v[180:183], a[68:69], v[164:165], v[180:183]// 00000000B768: D3D700B4 0ED34944
	v_mfma_i32_16x16x32_i8 v[180:183], a[70:71], v[166:167], v[180:183]// 00000000B770: D3D700B4 0ED34D46
	v_mfma_i32_16x16x32_i8 v[184:187], a[72:73], v[144:145], v[184:187]// 00000000B778: D3D700B8 0EE32148
	buffer_load_dwordx4 a[152:155], v48, s[12:15], 0 offen     // 00000000B780: E05C1000 80839830
	v_mfma_i32_16x16x32_i8 v[184:187], a[74:75], v[146:147], v[184:187]// 00000000B788: D3D700B8 0EE3254A
	v_mfma_i32_16x16x32_i8 v[188:191], a[72:73], v[164:165], v[188:191]// 00000000B790: D3D700BC 0EF34948
	v_mfma_i32_16x16x32_i8 v[188:191], a[74:75], v[166:167], v[188:191]// 00000000B798: D3D700BC 0EF34D4A
	v_mfma_i32_16x16x32_i8 v[192:195], a[76:77], v[144:145], v[192:195]// 00000000B7A0: D3D700C0 0F03214C
	buffer_load_dwordx4 a[156:159], v49, s[12:15], 0 offen     // 00000000B7A8: E05C1000 80839C31
	v_mfma_i32_16x16x32_i8 v[192:195], a[78:79], v[146:147], v[192:195]// 00000000B7B0: D3D700C0 0F03254E
	v_mfma_i32_16x16x32_i8 v[196:199], a[76:77], v[164:165], v[196:199]// 00000000B7B8: D3D700C4 0F13494C
	v_mfma_i32_16x16x32_i8 v[196:199], a[78:79], v[166:167], v[196:199]// 00000000B7C0: D3D700C4 0F134D4E
	s_add_u32 s60, 0x200, s80                                  // 00000000B7C8: 803C50FF 00000200
	s_cmp_lt_u32 s60, s81                                      // 00000000B7D0: BF0A513C
	s_cselect_b32 s56, s56, 0                                  // 00000000B7D4: 85388038
	s_cselect_b32 s78, s78, 0                                  // 00000000B7D8: 854E804E
	s_cselect_b32 s79, s79, 0                                  // 00000000B7DC: 854F804F
	s_add_u32 s12, s56, s12                                    // 00000000B7E0: 800C0C38
	s_addc_u32 s13, 0, s13                                     // 00000000B7E4: 820D0D80
	s_add_u32 s16, s79, s16                                    // 00000000B7E8: 8010104F
	s_addc_u32 s17, 0, s17                                     // 00000000B7EC: 82111180
	v_mov_b32_e32 v42, v24                                     // 00000000B7F0: 7E540318
	v_mov_b32_e32 v44, v20                                     // 00000000B7F4: 7E580314
	v_mov_b32_e32 v43, v42                                     // 00000000B7F8: 7E56032A
	v_mov_b32_e32 v45, v44                                     // 00000000B7FC: 7E5A032C
	v_cvt_f32_i32_e32 v168, v168                               // 00000000B800: 7F500BA8
	v_cvt_f32_i32_e32 v169, v169                               // 00000000B804: 7F520BA9
	v_cvt_f32_i32_e32 v170, v170                               // 00000000B808: 7F540BAA
	v_cvt_f32_i32_e32 v171, v171                               // 00000000B80C: 7F560BAB
	v_pk_mul_f32 v[168:169], v[42:43], v[168:169]              // 00000000B810: D3B140A8 1803512A
	v_pk_mul_f32 v[170:171], v[42:43], v[170:171]              // 00000000B818: D3B140AA 1803552A
	v_mul_f32_dpp v168, v12, v168 row_newbcast:0 row_mask:0xf bank_mask:0xf// 00000000B820: 0B5150FA FF01500C
	v_mul_f32_dpp v169, v12, v169 row_newbcast:1 row_mask:0xf bank_mask:0xf// 00000000B828: 0B5352FA FF01510C
	v_mul_f32_dpp v170, v12, v170 row_newbcast:2 row_mask:0xf bank_mask:0xf// 00000000B830: 0B5554FA FF01520C
	v_mul_f32_dpp v171, v12, v171 row_newbcast:3 row_mask:0xf bank_mask:0xf// 00000000B838: 0B5756FA FF01530C
	v_pk_mul_f32 v[168:169], v[44:45], v[168:169]              // 00000000B840: D3B140A8 1803512C
	v_pk_mul_f32 v[170:171], v[44:45], v[170:171]              // 00000000B848: D3B140AA 1803552C
	v_cvt_f32_i32_e32 v176, v176                               // 00000000B850: 7F600BB0
	v_cvt_f32_i32_e32 v177, v177                               // 00000000B854: 7F620BB1
	v_cvt_f32_i32_e32 v178, v178                               // 00000000B858: 7F640BB2
	v_cvt_f32_i32_e32 v179, v179                               // 00000000B85C: 7F660BB3
	v_pk_mul_f32 v[176:177], v[42:43], v[176:177]              // 00000000B860: D3B140B0 1803612A
	v_pk_mul_f32 v[178:179], v[42:43], v[178:179]              // 00000000B868: D3B140B2 1803652A
	v_mul_f32_dpp v176, v12, v176 row_newbcast:4 row_mask:0xf bank_mask:0xf// 00000000B870: 0B6160FA FF01540C
	v_mul_f32_dpp v177, v12, v177 row_newbcast:5 row_mask:0xf bank_mask:0xf// 00000000B878: 0B6362FA FF01550C
	v_mul_f32_dpp v178, v12, v178 row_newbcast:6 row_mask:0xf bank_mask:0xf// 00000000B880: 0B6564FA FF01560C
	v_mul_f32_dpp v179, v12, v179 row_newbcast:7 row_mask:0xf bank_mask:0xf// 00000000B888: 0B6766FA FF01570C
	v_pk_mul_f32 v[176:177], v[44:45], v[176:177]              // 00000000B890: D3B140B0 1803612C
	v_pk_mul_f32 v[178:179], v[44:45], v[178:179]              // 00000000B898: D3B140B2 1803652C
	v_cvt_f32_i32_e32 v184, v184                               // 00000000B8A0: 7F700BB8
	v_cvt_f32_i32_e32 v185, v185                               // 00000000B8A4: 7F720BB9
	v_cvt_f32_i32_e32 v186, v186                               // 00000000B8A8: 7F740BBA
	v_cvt_f32_i32_e32 v187, v187                               // 00000000B8AC: 7F760BBB
	v_pk_mul_f32 v[184:185], v[42:43], v[184:185]              // 00000000B8B0: D3B140B8 1803712A
	v_pk_mul_f32 v[186:187], v[42:43], v[186:187]              // 00000000B8B8: D3B140BA 1803752A
	v_mul_f32_dpp v184, v12, v184 row_newbcast:8 row_mask:0xf bank_mask:0xf// 00000000B8C0: 0B7170FA FF01580C
	v_mul_f32_dpp v185, v12, v185 row_newbcast:9 row_mask:0xf bank_mask:0xf// 00000000B8C8: 0B7372FA FF01590C
	v_mul_f32_dpp v186, v12, v186 row_newbcast:10 row_mask:0xf bank_mask:0xf// 00000000B8D0: 0B7574FA FF015A0C
	v_mul_f32_dpp v187, v12, v187 row_newbcast:11 row_mask:0xf bank_mask:0xf// 00000000B8D8: 0B7776FA FF015B0C
	v_pk_mul_f32 v[184:185], v[44:45], v[184:185]              // 00000000B8E0: D3B140B8 1803712C
	v_pk_mul_f32 v[186:187], v[44:45], v[186:187]              // 00000000B8E8: D3B140BA 1803752C
	v_cvt_f32_i32_e32 v192, v192                               // 00000000B8F0: 7F800BC0
	v_cvt_f32_i32_e32 v193, v193                               // 00000000B8F4: 7F820BC1
	v_cvt_f32_i32_e32 v194, v194                               // 00000000B8F8: 7F840BC2
	v_cvt_f32_i32_e32 v195, v195                               // 00000000B8FC: 7F860BC3
	v_pk_mul_f32 v[192:193], v[42:43], v[192:193]              // 00000000B900: D3B140C0 1803812A
	v_pk_mul_f32 v[194:195], v[42:43], v[194:195]              // 00000000B908: D3B140C2 1803852A
	v_mul_f32_dpp v192, v12, v192 row_newbcast:12 row_mask:0xf bank_mask:0xf// 00000000B910: 0B8180FA FF015C0C
	v_mul_f32_dpp v193, v12, v193 row_newbcast:13 row_mask:0xf bank_mask:0xf// 00000000B918: 0B8382FA FF015D0C
	v_mul_f32_dpp v194, v12, v194 row_newbcast:14 row_mask:0xf bank_mask:0xf// 00000000B920: 0B8584FA FF015E0C
	v_mul_f32_dpp v195, v12, v195 row_newbcast:15 row_mask:0xf bank_mask:0xf// 00000000B928: 0B8786FA FF015F0C
	v_pk_mul_f32 v[192:193], v[44:45], v[192:193]              // 00000000B930: D3B140C0 1803812C
	v_pk_mul_f32 v[194:195], v[44:45], v[194:195]              // 00000000B938: D3B140C2 1803852C
	v_mov_b32_e32 v42, v25                                     // 00000000B940: 7E540319
	v_mov_b32_e32 v44, v21                                     // 00000000B944: 7E580315
	v_mov_b32_e32 v43, v42                                     // 00000000B948: 7E56032A
	v_mov_b32_e32 v45, v44                                     // 00000000B94C: 7E5A032C
	v_cvt_f32_i32_e32 v172, v172                               // 00000000B950: 7F580BAC
	v_cvt_f32_i32_e32 v173, v173                               // 00000000B954: 7F5A0BAD
	v_cvt_f32_i32_e32 v174, v174                               // 00000000B958: 7F5C0BAE
	v_cvt_f32_i32_e32 v175, v175                               // 00000000B95C: 7F5E0BAF
	v_pk_mul_f32 v[172:173], v[42:43], v[172:173]              // 00000000B960: D3B140AC 1803592A
	v_pk_mul_f32 v[174:175], v[42:43], v[174:175]              // 00000000B968: D3B140AE 18035D2A
	v_mul_f32_dpp v172, v12, v172 row_newbcast:0 row_mask:0xf bank_mask:0xf// 00000000B970: 0B5958FA FF01500C
	v_mul_f32_dpp v173, v12, v173 row_newbcast:1 row_mask:0xf bank_mask:0xf// 00000000B978: 0B5B5AFA FF01510C
	v_mul_f32_dpp v174, v12, v174 row_newbcast:2 row_mask:0xf bank_mask:0xf// 00000000B980: 0B5D5CFA FF01520C
	v_mul_f32_dpp v175, v12, v175 row_newbcast:3 row_mask:0xf bank_mask:0xf// 00000000B988: 0B5F5EFA FF01530C
	v_pk_mul_f32 v[172:173], v[44:45], v[172:173]              // 00000000B990: D3B140AC 1803592C
	v_pk_mul_f32 v[174:175], v[44:45], v[174:175]              // 00000000B998: D3B140AE 18035D2C
	v_cvt_f32_i32_e32 v180, v180                               // 00000000B9A0: 7F680BB4
	v_cvt_f32_i32_e32 v181, v181                               // 00000000B9A4: 7F6A0BB5
	v_cvt_f32_i32_e32 v182, v182                               // 00000000B9A8: 7F6C0BB6
	v_cvt_f32_i32_e32 v183, v183                               // 00000000B9AC: 7F6E0BB7
	v_pk_mul_f32 v[180:181], v[42:43], v[180:181]              // 00000000B9B0: D3B140B4 1803692A
	v_pk_mul_f32 v[182:183], v[42:43], v[182:183]              // 00000000B9B8: D3B140B6 18036D2A
	v_mul_f32_dpp v180, v12, v180 row_newbcast:4 row_mask:0xf bank_mask:0xf// 00000000B9C0: 0B6968FA FF01540C
	v_mul_f32_dpp v181, v12, v181 row_newbcast:5 row_mask:0xf bank_mask:0xf// 00000000B9C8: 0B6B6AFA FF01550C
	v_mul_f32_dpp v182, v12, v182 row_newbcast:6 row_mask:0xf bank_mask:0xf// 00000000B9D0: 0B6D6CFA FF01560C
	v_mul_f32_dpp v183, v12, v183 row_newbcast:7 row_mask:0xf bank_mask:0xf// 00000000B9D8: 0B6F6EFA FF01570C
	v_pk_mul_f32 v[180:181], v[44:45], v[180:181]              // 00000000B9E0: D3B140B4 1803692C
	v_pk_mul_f32 v[182:183], v[44:45], v[182:183]              // 00000000B9E8: D3B140B6 18036D2C
	v_cvt_f32_i32_e32 v188, v188                               // 00000000B9F0: 7F780BBC
	v_cvt_f32_i32_e32 v189, v189                               // 00000000B9F4: 7F7A0BBD
	v_cvt_f32_i32_e32 v190, v190                               // 00000000B9F8: 7F7C0BBE
	v_cvt_f32_i32_e32 v191, v191                               // 00000000B9FC: 7F7E0BBF
	v_pk_mul_f32 v[188:189], v[42:43], v[188:189]              // 00000000BA00: D3B140BC 1803792A
	v_pk_mul_f32 v[190:191], v[42:43], v[190:191]              // 00000000BA08: D3B140BE 18037D2A
	v_mul_f32_dpp v188, v12, v188 row_newbcast:8 row_mask:0xf bank_mask:0xf// 00000000BA10: 0B7978FA FF01580C
	v_mul_f32_dpp v189, v12, v189 row_newbcast:9 row_mask:0xf bank_mask:0xf// 00000000BA18: 0B7B7AFA FF01590C
	v_mul_f32_dpp v190, v12, v190 row_newbcast:10 row_mask:0xf bank_mask:0xf// 00000000BA20: 0B7D7CFA FF015A0C
	v_mul_f32_dpp v191, v12, v191 row_newbcast:11 row_mask:0xf bank_mask:0xf// 00000000BA28: 0B7F7EFA FF015B0C
	v_pk_mul_f32 v[188:189], v[44:45], v[188:189]              // 00000000BA30: D3B140BC 1803792C
	v_pk_mul_f32 v[190:191], v[44:45], v[190:191]              // 00000000BA38: D3B140BE 18037D2C
	v_cvt_f32_i32_e32 v196, v196                               // 00000000BA40: 7F880BC4
	v_cvt_f32_i32_e32 v197, v197                               // 00000000BA44: 7F8A0BC5
	v_cvt_f32_i32_e32 v198, v198                               // 00000000BA48: 7F8C0BC6
	v_cvt_f32_i32_e32 v199, v199                               // 00000000BA4C: 7F8E0BC7
	v_pk_mul_f32 v[196:197], v[42:43], v[196:197]              // 00000000BA50: D3B140C4 1803892A
	v_pk_mul_f32 v[198:199], v[42:43], v[198:199]              // 00000000BA58: D3B140C6 18038D2A
	v_mul_f32_dpp v196, v12, v196 row_newbcast:12 row_mask:0xf bank_mask:0xf// 00000000BA60: 0B8988FA FF015C0C
	v_mul_f32_dpp v197, v12, v197 row_newbcast:13 row_mask:0xf bank_mask:0xf// 00000000BA68: 0B8B8AFA FF015D0C
	v_mul_f32_dpp v198, v12, v198 row_newbcast:14 row_mask:0xf bank_mask:0xf// 00000000BA70: 0B8D8CFA FF015E0C
	v_mul_f32_dpp v199, v12, v199 row_newbcast:15 row_mask:0xf bank_mask:0xf// 00000000BA78: 0B8F8EFA FF015F0C
	v_pk_mul_f32 v[196:197], v[44:45], v[196:197]              // 00000000BA80: D3B140C4 1803892C
	v_pk_mul_f32 v[198:199], v[44:45], v[198:199]              // 00000000BA88: D3B140C6 18038D2C
	v_cvt_pkrtz_f16_f32 v168, v168, v169                       // 00000000BA90: D29600A8 000353A8
	v_cvt_pkrtz_f16_f32 v169, v170, v171                       // 00000000BA98: D29600A9 000357AA
	v_cvt_pkrtz_f16_f32 v170, v172, v173                       // 00000000BAA0: D29600AA 00035BAC
	v_cvt_pkrtz_f16_f32 v171, v174, v175                       // 00000000BAA8: D29600AB 00035FAE
	v_cvt_pkrtz_f16_f32 v172, v176, v177                       // 00000000BAB0: D29600AC 000363B0
	v_cvt_pkrtz_f16_f32 v173, v178, v179                       // 00000000BAB8: D29600AD 000367B2
	v_cvt_pkrtz_f16_f32 v174, v180, v181                       // 00000000BAC0: D29600AE 00036BB4
	v_cvt_pkrtz_f16_f32 v175, v182, v183                       // 00000000BAC8: D29600AF 00036FB6
	v_cvt_pkrtz_f16_f32 v176, v184, v185                       // 00000000BAD0: D29600B0 000373B8
	v_cvt_pkrtz_f16_f32 v177, v186, v187                       // 00000000BAD8: D29600B1 000377BA
	v_cvt_pkrtz_f16_f32 v178, v188, v189                       // 00000000BAE0: D29600B2 00037BBC
	v_cvt_pkrtz_f16_f32 v179, v190, v191                       // 00000000BAE8: D29600B3 00037FBE
	v_cvt_pkrtz_f16_f32 v180, v192, v193                       // 00000000BAF0: D29600B4 000383C0
	v_cvt_pkrtz_f16_f32 v181, v194, v195                       // 00000000BAF8: D29600B5 000387C2
	v_cvt_pkrtz_f16_f32 v182, v196, v197                       // 00000000BB00: D29600B6 00038BC4
	v_cvt_pkrtz_f16_f32 v183, v198, v199                       // 00000000BB08: D29600B7 00038FC6
	s_cmp_ge_u32 s80, 0x200                                    // 00000000BB10: BF09FF50 00000200
	s_cselect_b32 s59, 0x200, s59                              // 00000000BB18: 853B3BFF 00000200
	s_mov_b64 exec, s[20:21]                                   // 00000000BB20: BEFE0114
	global_atomic_pk_add_f16 v80, v64, s[8:9]                  // 00000000BB24: DD388000 00084050
	s_mov_b64 exec, s[36:37]                                   // 00000000BB2C: BEFE0124
	s_mov_b64 exec, s[20:21]                                   // 00000000BB30: BEFE0114
	global_atomic_pk_add_f16 v80, v65, s[8:9] offset:256       // 00000000BB34: DD388100 00084150
	s_mov_b64 exec, s[36:37]                                   // 00000000BB3C: BEFE0124
	s_mov_b64 exec, s[22:23]                                   // 00000000BB40: BEFE0116
	global_atomic_pk_add_f16 v82, v66, s[8:9]                  // 00000000BB44: DD388000 00084252
	s_mov_b64 exec, s[36:37]                                   // 00000000BB4C: BEFE0124
	s_mov_b64 exec, s[22:23]                                   // 00000000BB50: BEFE0116
	global_atomic_pk_add_f16 v82, v67, s[8:9] offset:256       // 00000000BB54: DD388100 00084352
	s_mov_b64 exec, s[36:37]                                   // 00000000BB5C: BEFE0124
	s_mov_b64 exec, s[24:25]                                   // 00000000BB60: BEFE0118
	global_atomic_pk_add_f16 v84, v68, s[8:9]                  // 00000000BB64: DD388000 00084454
	s_mov_b64 exec, s[36:37]                                   // 00000000BB6C: BEFE0124
	s_mov_b64 exec, s[24:25]                                   // 00000000BB70: BEFE0118
	global_atomic_pk_add_f16 v84, v69, s[8:9] offset:256       // 00000000BB74: DD388100 00084554
	s_mov_b64 exec, s[36:37]                                   // 00000000BB7C: BEFE0124
	s_mov_b64 exec, s[26:27]                                   // 00000000BB80: BEFE011A
	global_atomic_pk_add_f16 v86, v70, s[8:9]                  // 00000000BB84: DD388000 00084656
	s_mov_b64 exec, s[36:37]                                   // 00000000BB8C: BEFE0124
	s_mov_b64 exec, s[26:27]                                   // 00000000BB90: BEFE011A
	global_atomic_pk_add_f16 v86, v71, s[8:9] offset:256       // 00000000BB94: DD388100 00084756
	s_mov_b64 exec, s[36:37]                                   // 00000000BB9C: BEFE0124
	s_mov_b64 exec, s[28:29]                                   // 00000000BBA0: BEFE011C
	global_atomic_pk_add_f16 v88, v72, s[8:9]                  // 00000000BBA4: DD388000 00084858
	s_mov_b64 exec, s[36:37]                                   // 00000000BBAC: BEFE0124
	s_mov_b64 exec, s[28:29]                                   // 00000000BBB0: BEFE011C
	global_atomic_pk_add_f16 v88, v73, s[8:9] offset:256       // 00000000BBB4: DD388100 00084958
	s_mov_b64 exec, s[36:37]                                   // 00000000BBBC: BEFE0124
	s_mov_b64 exec, s[30:31]                                   // 00000000BBC0: BEFE011E
	global_atomic_pk_add_f16 v90, v74, s[8:9]                  // 00000000BBC4: DD388000 00084A5A
	s_mov_b64 exec, s[36:37]                                   // 00000000BBCC: BEFE0124
	s_mov_b64 exec, s[30:31]                                   // 00000000BBD0: BEFE011E
	global_atomic_pk_add_f16 v90, v75, s[8:9] offset:256       // 00000000BBD4: DD388100 00084B5A
	s_mov_b64 exec, s[36:37]                                   // 00000000BBDC: BEFE0124
	s_mov_b64 exec, s[32:33]                                   // 00000000BBE0: BEFE0120
	global_atomic_pk_add_f16 v92, v76, s[8:9]                  // 00000000BBE4: DD388000 00084C5C
	s_mov_b64 exec, s[36:37]                                   // 00000000BBEC: BEFE0124
	s_mov_b64 exec, s[32:33]                                   // 00000000BBF0: BEFE0120
	global_atomic_pk_add_f16 v92, v77, s[8:9] offset:256       // 00000000BBF4: DD388100 00084D5C
	s_mov_b64 exec, s[36:37]                                   // 00000000BBFC: BEFE0124
	s_mov_b64 exec, s[34:35]                                   // 00000000BC00: BEFE0122
	global_atomic_pk_add_f16 v94, v78, s[8:9]                  // 00000000BC04: DD388000 00084E5E
	s_mov_b64 exec, s[36:37]                                   // 00000000BC0C: BEFE0124
	s_mov_b64 exec, s[34:35]                                   // 00000000BC10: BEFE0122
	global_atomic_pk_add_f16 v94, v79, s[8:9] offset:256       // 00000000BC14: DD388100 00084F5E
	s_mov_b64 exec, s[36:37]                                   // 00000000BC1C: BEFE0124
	s_add_u32 s8, s59, s8                                      // 00000000BC20: 8008083B
	s_addc_u32 s9, 0, s9                                       // 00000000BC24: 82090980
	s_addk_i32 s80, 0x100                                      // 00000000BC28: B7500100
	s_cmp_lt_i32 s80, s81                                      // 00000000BC2C: BF045150
	s_cbranch_scc0 label_14D1                                  // 00000000BC30: BF84F144
	s_waitcnt vmcnt(33) lgkmcnt(0)                             // 00000000BC34: BF8C8071
	s_barrier                                                  // 00000000BC38: BF8A0000
	v_mfma_i32_16x16x32_i8 v[200:203], a[80:81], v[128:129], 0 // 00000000BC3C: D3D700C8 0A030150
	buffer_load_dwordx4 a[0:3], v46, s[12:15], 0 offen         // 00000000BC44: E05C1000 8083002E
	v_mfma_i32_16x16x32_i8 v[200:203], a[82:83], v[130:131], v[200:203]// 00000000BC4C: D3D700C8 0F230552
	ds_read_b32 v64, v4 offset:19456                           // 00000000BC54: D86C4C00 40000004
	ds_read_b32 v65, v4 offset:23808                           // 00000000BC5C: D86C5D00 41000004
	v_mfma_i32_16x16x32_i8 v[204:207], a[80:81], v[148:149], 0 // 00000000BC64: D3D700CC 0A032950
	v_mfma_i32_16x16x32_i8 v[204:207], a[82:83], v[150:151], v[204:207]// 00000000BC6C: D3D700CC 0F332D52
	ds_read_b32 v66, v4 offset:19488                           // 00000000BC74: D86C4C20 42000004
	ds_read_b32 v67, v4 offset:23840                           // 00000000BC7C: D86C5D20 43000004
	v_mfma_i32_16x16x32_i8 v[208:211], a[84:85], v[128:129], 0 // 00000000BC84: D3D700D0 0A030154
	buffer_load_dwordx4 a[4:7], v47, s[12:15], 0 offen         // 00000000BC8C: E05C1000 8083042F
	v_mfma_i32_16x16x32_i8 v[208:211], a[86:87], v[130:131], v[208:211]// 00000000BC94: D3D700D0 0F430556
	ds_read_b32 v68, v4 offset:19520                           // 00000000BC9C: D86C4C40 44000004
	ds_read_b32 v69, v4 offset:23872                           // 00000000BCA4: D86C5D40 45000004
	v_mfma_i32_16x16x32_i8 v[212:215], a[84:85], v[148:149], 0 // 00000000BCAC: D3D700D4 0A032954
	v_mfma_i32_16x16x32_i8 v[212:215], a[86:87], v[150:151], v[212:215]// 00000000BCB4: D3D700D4 0F532D56
	ds_read_b32 v70, v4 offset:19552                           // 00000000BCBC: D86C4C60 46000004
	ds_read_b32 v71, v4 offset:23904                           // 00000000BCC4: D86C5D60 47000004
	v_mfma_i32_16x16x32_i8 v[216:219], a[88:89], v[128:129], 0 // 00000000BCCC: D3D700D8 0A030158
	buffer_load_dwordx4 a[8:11], v48, s[12:15], 0 offen        // 00000000BCD4: E05C1000 80830830
	v_mfma_i32_16x16x32_i8 v[216:219], a[90:91], v[130:131], v[216:219]// 00000000BCDC: D3D700D8 0F63055A
	ds_read_b32 v72, v4 offset:28160                           // 00000000BCE4: D86C6E00 48000004
	ds_read_b32 v73, v4 offset:32512                           // 00000000BCEC: D86C7F00 49000004
	v_mfma_i32_16x16x32_i8 v[220:223], a[88:89], v[148:149], 0 // 00000000BCF4: D3D700DC 0A032958
	v_mfma_i32_16x16x32_i8 v[220:223], a[90:91], v[150:151], v[220:223]// 00000000BCFC: D3D700DC 0F732D5A
	ds_read_b32 v74, v4 offset:28192                           // 00000000BD04: D86C6E20 4A000004
	ds_read_b32 v75, v4 offset:32544                           // 00000000BD0C: D86C7F20 4B000004
	v_mfma_i32_16x16x32_i8 v[224:227], a[92:93], v[128:129], 0 // 00000000BD14: D3D700E0 0A03015C
	buffer_load_dwordx4 a[12:15], v49, s[12:15], 0 offen       // 00000000BD1C: E05C1000 80830C31
	s_add_u32 s12, s78, s12                                    // 00000000BD24: 800C0C4E
	s_addc_u32 s13, 0, s13                                     // 00000000BD28: 820D0D80
	v_mfma_i32_16x16x32_i8 v[224:227], a[94:95], v[130:131], v[224:227]// 00000000BD2C: D3D700E0 0F83055E
	ds_read_b32 v76, v4 offset:28224                           // 00000000BD34: D86C6E40 4C000004
	ds_read_b32 v77, v4 offset:32576                           // 00000000BD3C: D86C7F40 4D000004
	v_mfma_i32_16x16x32_i8 v[228:231], a[92:93], v[148:149], 0 // 00000000BD44: D3D700E4 0A03295C
	v_mfma_i32_16x16x32_i8 v[228:231], a[94:95], v[150:151], v[228:231]// 00000000BD4C: D3D700E4 0F932D5E
	ds_read_b32 v78, v4 offset:28256                           // 00000000BD54: D86C6E60 4E000004
	ds_read_b32 v79, v4 offset:32608                           // 00000000BD5C: D86C7F60 4F000004
	s_waitcnt vmcnt(33)                                        // 00000000BD64: BF8C8F71
	v_mfma_i32_16x16x32_i8 v[200:203], a[96:97], v[132:133], v[200:203]// 00000000BD68: D3D700C8 0F230960
	buffer_load_dwordx4 a[16:19], v46, s[12:15], 0 offen       // 00000000BD70: E05C1000 8083102E
	v_mfma_i32_16x16x32_i8 v[200:203], a[98:99], v[134:135], v[200:203]// 00000000BD78: D3D700C8 0F230D62
	v_mfma_i32_16x16x32_i8 v[204:207], a[96:97], v[152:153], v[204:207]// 00000000BD80: D3D700CC 0F333160
	v_mfma_i32_16x16x32_i8 v[204:207], a[98:99], v[154:155], v[204:207]// 00000000BD88: D3D700CC 0F333562
	v_mfma_i32_16x16x32_i8 v[208:211], a[100:101], v[132:133], v[208:211]// 00000000BD90: D3D700D0 0F430964
	buffer_load_dwordx4 a[20:23], v47, s[12:15], 0 offen       // 00000000BD98: E05C1000 8083142F
	v_mfma_i32_16x16x32_i8 v[208:211], a[102:103], v[134:135], v[208:211]// 00000000BDA0: D3D700D0 0F430D66
	v_mfma_i32_16x16x32_i8 v[212:215], a[100:101], v[152:153], v[212:215]// 00000000BDA8: D3D700D4 0F533164
	v_mfma_i32_16x16x32_i8 v[212:215], a[102:103], v[154:155], v[212:215]// 00000000BDB0: D3D700D4 0F533566
	v_mfma_i32_16x16x32_i8 v[216:219], a[104:105], v[132:133], v[216:219]// 00000000BDB8: D3D700D8 0F630968
	buffer_load_dwordx4 a[24:27], v48, s[12:15], 0 offen       // 00000000BDC0: E05C1000 80831830
	v_mfma_i32_16x16x32_i8 v[216:219], a[106:107], v[134:135], v[216:219]// 00000000BDC8: D3D700D8 0F630D6A
	v_mfma_i32_16x16x32_i8 v[220:223], a[104:105], v[152:153], v[220:223]// 00000000BDD0: D3D700DC 0F733168
	v_mfma_i32_16x16x32_i8 v[220:223], a[106:107], v[154:155], v[220:223]// 00000000BDD8: D3D700DC 0F73356A
	v_mfma_i32_16x16x32_i8 v[224:227], a[108:109], v[132:133], v[224:227]// 00000000BDE0: D3D700E0 0F83096C
	buffer_load_dwordx4 a[28:31], v49, s[12:15], 0 offen       // 00000000BDE8: E05C1000 80831C31
	s_add_u32 s12, s78, s12                                    // 00000000BDF0: 800C0C4E
	s_addc_u32 s13, 0, s13                                     // 00000000BDF4: 820D0D80
	v_mfma_i32_16x16x32_i8 v[224:227], a[110:111], v[134:135], v[224:227]// 00000000BDF8: D3D700E0 0F830D6E
	v_mfma_i32_16x16x32_i8 v[228:231], a[108:109], v[152:153], v[228:231]// 00000000BE00: D3D700E4 0F93316C
	v_mfma_i32_16x16x32_i8 v[228:231], a[110:111], v[154:155], v[228:231]// 00000000BE08: D3D700E4 0F93356E
	s_waitcnt vmcnt(33)                                        // 00000000BE10: BF8C8F71
	v_mfma_i32_16x16x32_i8 v[200:203], a[112:113], v[136:137], v[200:203]// 00000000BE14: D3D700C8 0F231170
	buffer_load_dwordx4 a[32:35], v46, s[12:15], 0 offen       // 00000000BE1C: E05C1000 8083202E
	v_mfma_i32_16x16x32_i8 v[200:203], a[114:115], v[138:139], v[200:203]// 00000000BE24: D3D700C8 0F231572
	ds_write_b64 v3, v[168:169] offset:2048                    // 00000000BE2C: D89A0800 0000A803
	v_mfma_i32_16x16x32_i8 v[204:207], a[112:113], v[156:157], v[204:207]// 00000000BE34: D3D700CC 0F333970
	v_mfma_i32_16x16x32_i8 v[204:207], a[114:115], v[158:159], v[204:207]// 00000000BE3C: D3D700CC 0F333D72
	ds_write_b64 v3, v[170:171] offset:10752                   // 00000000BE44: D89A2A00 0000AA03
	v_mfma_i32_16x16x32_i8 v[208:211], a[116:117], v[136:137], v[208:211]// 00000000BE4C: D3D700D0 0F431174
	buffer_load_dwordx4 a[36:39], v47, s[12:15], 0 offen       // 00000000BE54: E05C1000 8083242F
	v_mfma_i32_16x16x32_i8 v[208:211], a[118:119], v[138:139], v[208:211]// 00000000BE5C: D3D700D0 0F431576
	ds_write_b64 v3, v[172:173] offset:4224                    // 00000000BE64: D89A1080 0000AC03
	v_mfma_i32_16x16x32_i8 v[212:215], a[116:117], v[156:157], v[212:215]// 00000000BE6C: D3D700D4 0F533974
	v_mfma_i32_16x16x32_i8 v[212:215], a[118:119], v[158:159], v[212:215]// 00000000BE74: D3D700D4 0F533D76
	ds_write_b64 v3, v[174:175] offset:12928                   // 00000000BE7C: D89A3280 0000AE03
	v_mfma_i32_16x16x32_i8 v[216:219], a[120:121], v[136:137], v[216:219]// 00000000BE84: D3D700D8 0F631178
	buffer_load_dwordx4 a[40:43], v48, s[12:15], 0 offen       // 00000000BE8C: E05C1000 80832830
	v_mfma_i32_16x16x32_i8 v[216:219], a[122:123], v[138:139], v[216:219]// 00000000BE94: D3D700D8 0F63157A
	ds_write_b64 v3, v[176:177] offset:6400                    // 00000000BE9C: D89A1900 0000B003
	v_mfma_i32_16x16x32_i8 v[220:223], a[120:121], v[156:157], v[220:223]// 00000000BEA4: D3D700DC 0F733978
	v_mfma_i32_16x16x32_i8 v[220:223], a[122:123], v[158:159], v[220:223]// 00000000BEAC: D3D700DC 0F733D7A
	ds_write_b64 v3, v[178:179] offset:15104                   // 00000000BEB4: D89A3B00 0000B203
	v_mfma_i32_16x16x32_i8 v[224:227], a[124:125], v[136:137], v[224:227]// 00000000BEBC: D3D700E0 0F83117C
	buffer_load_dwordx4 a[44:47], v49, s[12:15], 0 offen       // 00000000BEC4: E05C1000 80832C31
	s_add_u32 s12, s78, s12                                    // 00000000BECC: 800C0C4E
	s_addc_u32 s13, 0, s13                                     // 00000000BED0: 820D0D80
	v_mfma_i32_16x16x32_i8 v[224:227], a[126:127], v[138:139], v[224:227]// 00000000BED4: D3D700E0 0F83157E
	ds_write_b64 v3, v[180:181] offset:8576                    // 00000000BEDC: D89A2180 0000B403
	v_mfma_i32_16x16x32_i8 v[228:231], a[124:125], v[156:157], v[228:231]// 00000000BEE4: D3D700E4 0F93397C
	v_mfma_i32_16x16x32_i8 v[228:231], a[126:127], v[158:159], v[228:231]// 00000000BEEC: D3D700E4 0F933D7E
	ds_write_b64 v3, v[182:183] offset:17280                   // 00000000BEF4: D89A4380 0000B603
	s_waitcnt vmcnt(33)                                        // 00000000BEFC: BF8C8F71
	v_mfma_i32_16x16x32_i8 v[200:203], a[128:129], v[140:141], v[200:203]// 00000000BF00: D3D700C8 0F231980
	buffer_load_dwordx4 a[48:51], v46, s[12:15], 0 offen       // 00000000BF08: E05C1000 8083302E
	v_mfma_i32_16x16x32_i8 v[200:203], a[130:131], v[142:143], v[200:203]// 00000000BF10: D3D700C8 0F231D82
	v_mfma_i32_16x16x32_i8 v[204:207], a[128:129], v[160:161], v[204:207]// 00000000BF18: D3D700CC 0F334180
	v_mfma_i32_16x16x32_i8 v[204:207], a[130:131], v[162:163], v[204:207]// 00000000BF20: D3D700CC 0F334582
	v_mfma_i32_16x16x32_i8 v[208:211], a[132:133], v[140:141], v[208:211]// 00000000BF28: D3D700D0 0F431984
	buffer_load_dwordx4 a[52:55], v47, s[12:15], 0 offen       // 00000000BF30: E05C1000 8083342F
	v_mfma_i32_16x16x32_i8 v[208:211], a[134:135], v[142:143], v[208:211]// 00000000BF38: D3D700D0 0F431D86
	v_mfma_i32_16x16x32_i8 v[212:215], a[132:133], v[160:161], v[212:215]// 00000000BF40: D3D700D4 0F534184
	v_mfma_i32_16x16x32_i8 v[212:215], a[134:135], v[162:163], v[212:215]// 00000000BF48: D3D700D4 0F534586
	v_mfma_i32_16x16x32_i8 v[216:219], a[136:137], v[140:141], v[216:219]// 00000000BF50: D3D700D8 0F631988
	buffer_load_dwordx4 a[56:59], v48, s[12:15], 0 offen       // 00000000BF58: E05C1000 80833830
	v_mfma_i32_16x16x32_i8 v[216:219], a[138:139], v[142:143], v[216:219]// 00000000BF60: D3D700D8 0F631D8A
	v_mfma_i32_16x16x32_i8 v[220:223], a[136:137], v[160:161], v[220:223]// 00000000BF68: D3D700DC 0F734188
	v_mfma_i32_16x16x32_i8 v[220:223], a[138:139], v[162:163], v[220:223]// 00000000BF70: D3D700DC 0F73458A
	v_mfma_i32_16x16x32_i8 v[224:227], a[140:141], v[140:141], v[224:227]// 00000000BF78: D3D700E0 0F83198C
	buffer_load_dwordx4 a[60:63], v49, s[12:15], 0 offen       // 00000000BF80: E05C1000 80833C31
	s_add_u32 s12, s78, s12                                    // 00000000BF88: 800C0C4E
	s_addc_u32 s13, 0, s13                                     // 00000000BF8C: 820D0D80
	v_mfma_i32_16x16x32_i8 v[224:227], a[142:143], v[142:143], v[224:227]// 00000000BF90: D3D700E0 0F831D8E
	v_mfma_i32_16x16x32_i8 v[228:231], a[140:141], v[160:161], v[228:231]// 00000000BF98: D3D700E4 0F93418C
	v_mfma_i32_16x16x32_i8 v[228:231], a[142:143], v[162:163], v[228:231]// 00000000BFA0: D3D700E4 0F93458E
	s_waitcnt vmcnt(32)                                        // 00000000BFA8: BF8C8F70
	v_mfma_i32_16x16x32_i8 v[200:203], a[144:145], v[144:145], v[200:203]// 00000000BFAC: D3D700C8 0F232190
	buffer_load_dwordx4 a[64:67], v46, s[12:15], 0 offen       // 00000000BFB4: E05C1000 8083402E
	v_mfma_i32_16x16x32_i8 v[200:203], a[146:147], v[146:147], v[200:203]// 00000000BFBC: D3D700C8 0F232592
	v_mfma_i32_16x16x32_i8 v[204:207], a[144:145], v[164:165], v[204:207]// 00000000BFC4: D3D700CC 0F334990
	buffer_load_dword v12, v5, s[16:19], 0 offen               // 00000000BFCC: E0501000 80040C05
	v_mfma_i32_16x16x32_i8 v[204:207], a[146:147], v[166:167], v[204:207]// 00000000BFD4: D3D700CC 0F334D92
	v_mfma_i32_16x16x32_i8 v[208:211], a[148:149], v[144:145], v[208:211]// 00000000BFDC: D3D700D0 0F432194
	buffer_load_dwordx4 a[68:71], v47, s[12:15], 0 offen       // 00000000BFE4: E05C1000 8083442F
	v_mfma_i32_16x16x32_i8 v[208:211], a[150:151], v[146:147], v[208:211]// 00000000BFEC: D3D700D0 0F432596
	v_mfma_i32_16x16x32_i8 v[212:215], a[148:149], v[164:165], v[212:215]// 00000000BFF4: D3D700D4 0F534994
	v_mfma_i32_16x16x32_i8 v[212:215], a[150:151], v[166:167], v[212:215]// 00000000BFFC: D3D700D4 0F534D96
	v_mfma_i32_16x16x32_i8 v[216:219], a[152:153], v[144:145], v[216:219]// 00000000C004: D3D700D8 0F632198
	buffer_load_dwordx4 a[72:75], v48, s[12:15], 0 offen       // 00000000C00C: E05C1000 80834830
	v_mfma_i32_16x16x32_i8 v[216:219], a[154:155], v[146:147], v[216:219]// 00000000C014: D3D700D8 0F63259A
	v_mfma_i32_16x16x32_i8 v[220:223], a[152:153], v[164:165], v[220:223]// 00000000C01C: D3D700DC 0F734998
	v_mfma_i32_16x16x32_i8 v[220:223], a[154:155], v[166:167], v[220:223]// 00000000C024: D3D700DC 0F734D9A
	v_mfma_i32_16x16x32_i8 v[224:227], a[156:157], v[144:145], v[224:227]// 00000000C02C: D3D700E0 0F83219C
	buffer_load_dwordx4 a[76:79], v49, s[12:15], 0 offen       // 00000000C034: E05C1000 80834C31
	v_mfma_i32_16x16x32_i8 v[224:227], a[158:159], v[146:147], v[224:227]// 00000000C03C: D3D700E0 0F83259E
	v_mfma_i32_16x16x32_i8 v[228:231], a[156:157], v[164:165], v[228:231]// 00000000C044: D3D700E4 0F93499C
	v_mfma_i32_16x16x32_i8 v[228:231], a[158:159], v[166:167], v[228:231]// 00000000C04C: D3D700E4 0F934D9E
	s_add_u32 s60, 0x200, s80                                  // 00000000C054: 803C50FF 00000200
	s_cmp_lt_u32 s60, s81                                      // 00000000C05C: BF0A513C
	s_cselect_b32 s56, s56, 0                                  // 00000000C060: 85388038
	s_cselect_b32 s78, s78, 0                                  // 00000000C064: 854E804E
	s_cselect_b32 s79, s79, 0                                  // 00000000C068: 854F804F
	s_add_u32 s12, s56, s12                                    // 00000000C06C: 800C0C38
	s_addc_u32 s13, 0, s13                                     // 00000000C070: 820D0D80
	s_add_u32 s16, s79, s16                                    // 00000000C074: 8010104F
	s_addc_u32 s17, 0, s17                                     // 00000000C078: 82111180
	v_mov_b32_e32 v42, v24                                     // 00000000C07C: 7E540318
	v_mov_b32_e32 v44, v20                                     // 00000000C080: 7E580314
	v_mov_b32_e32 v43, v42                                     // 00000000C084: 7E56032A
	v_mov_b32_e32 v45, v44                                     // 00000000C088: 7E5A032C
	v_cvt_f32_i32_e32 v200, v200                               // 00000000C08C: 7F900BC8
	v_cvt_f32_i32_e32 v201, v201                               // 00000000C090: 7F920BC9
	v_cvt_f32_i32_e32 v202, v202                               // 00000000C094: 7F940BCA
	v_cvt_f32_i32_e32 v203, v203                               // 00000000C098: 7F960BCB
	v_pk_mul_f32 v[200:201], v[42:43], v[200:201]              // 00000000C09C: D3B140C8 1803912A
	v_pk_mul_f32 v[202:203], v[42:43], v[202:203]              // 00000000C0A4: D3B140CA 1803952A
	v_mul_f32_dpp v200, v13, v200 row_newbcast:0 row_mask:0xf bank_mask:0xf// 00000000C0AC: 0B9190FA FF01500D
	v_mul_f32_dpp v201, v13, v201 row_newbcast:1 row_mask:0xf bank_mask:0xf// 00000000C0B4: 0B9392FA FF01510D
	v_mul_f32_dpp v202, v13, v202 row_newbcast:2 row_mask:0xf bank_mask:0xf// 00000000C0BC: 0B9594FA FF01520D
	v_mul_f32_dpp v203, v13, v203 row_newbcast:3 row_mask:0xf bank_mask:0xf// 00000000C0C4: 0B9796FA FF01530D
	v_pk_mul_f32 v[200:201], v[44:45], v[200:201]              // 00000000C0CC: D3B140C8 1803912C
	v_pk_mul_f32 v[202:203], v[44:45], v[202:203]              // 00000000C0D4: D3B140CA 1803952C
	v_cvt_f32_i32_e32 v208, v208                               // 00000000C0DC: 7FA00BD0
	v_cvt_f32_i32_e32 v209, v209                               // 00000000C0E0: 7FA20BD1
	v_cvt_f32_i32_e32 v210, v210                               // 00000000C0E4: 7FA40BD2
	v_cvt_f32_i32_e32 v211, v211                               // 00000000C0E8: 7FA60BD3
	v_pk_mul_f32 v[208:209], v[42:43], v[208:209]              // 00000000C0EC: D3B140D0 1803A12A
	v_pk_mul_f32 v[210:211], v[42:43], v[210:211]              // 00000000C0F4: D3B140D2 1803A52A
	v_mul_f32_dpp v208, v13, v208 row_newbcast:4 row_mask:0xf bank_mask:0xf// 00000000C0FC: 0BA1A0FA FF01540D
	v_mul_f32_dpp v209, v13, v209 row_newbcast:5 row_mask:0xf bank_mask:0xf// 00000000C104: 0BA3A2FA FF01550D
	v_mul_f32_dpp v210, v13, v210 row_newbcast:6 row_mask:0xf bank_mask:0xf// 00000000C10C: 0BA5A4FA FF01560D
	v_mul_f32_dpp v211, v13, v211 row_newbcast:7 row_mask:0xf bank_mask:0xf// 00000000C114: 0BA7A6FA FF01570D
	v_pk_mul_f32 v[208:209], v[44:45], v[208:209]              // 00000000C11C: D3B140D0 1803A12C
	v_pk_mul_f32 v[210:211], v[44:45], v[210:211]              // 00000000C124: D3B140D2 1803A52C
	v_cvt_f32_i32_e32 v216, v216                               // 00000000C12C: 7FB00BD8
	v_cvt_f32_i32_e32 v217, v217                               // 00000000C130: 7FB20BD9
	v_cvt_f32_i32_e32 v218, v218                               // 00000000C134: 7FB40BDA
	v_cvt_f32_i32_e32 v219, v219                               // 00000000C138: 7FB60BDB
	v_pk_mul_f32 v[216:217], v[42:43], v[216:217]              // 00000000C13C: D3B140D8 1803B12A
	v_pk_mul_f32 v[218:219], v[42:43], v[218:219]              // 00000000C144: D3B140DA 1803B52A
	v_mul_f32_dpp v216, v13, v216 row_newbcast:8 row_mask:0xf bank_mask:0xf// 00000000C14C: 0BB1B0FA FF01580D
	v_mul_f32_dpp v217, v13, v217 row_newbcast:9 row_mask:0xf bank_mask:0xf// 00000000C154: 0BB3B2FA FF01590D
	v_mul_f32_dpp v218, v13, v218 row_newbcast:10 row_mask:0xf bank_mask:0xf// 00000000C15C: 0BB5B4FA FF015A0D
	v_mul_f32_dpp v219, v13, v219 row_newbcast:11 row_mask:0xf bank_mask:0xf// 00000000C164: 0BB7B6FA FF015B0D
	v_pk_mul_f32 v[216:217], v[44:45], v[216:217]              // 00000000C16C: D3B140D8 1803B12C
	v_pk_mul_f32 v[218:219], v[44:45], v[218:219]              // 00000000C174: D3B140DA 1803B52C
	v_cvt_f32_i32_e32 v224, v224                               // 00000000C17C: 7FC00BE0
	v_cvt_f32_i32_e32 v225, v225                               // 00000000C180: 7FC20BE1
	v_cvt_f32_i32_e32 v226, v226                               // 00000000C184: 7FC40BE2
	v_cvt_f32_i32_e32 v227, v227                               // 00000000C188: 7FC60BE3
	v_pk_mul_f32 v[224:225], v[42:43], v[224:225]              // 00000000C18C: D3B140E0 1803C12A
	v_pk_mul_f32 v[226:227], v[42:43], v[226:227]              // 00000000C194: D3B140E2 1803C52A
	v_mul_f32_dpp v224, v13, v224 row_newbcast:12 row_mask:0xf bank_mask:0xf// 00000000C19C: 0BC1C0FA FF015C0D
	v_mul_f32_dpp v225, v13, v225 row_newbcast:13 row_mask:0xf bank_mask:0xf// 00000000C1A4: 0BC3C2FA FF015D0D
	v_mul_f32_dpp v226, v13, v226 row_newbcast:14 row_mask:0xf bank_mask:0xf// 00000000C1AC: 0BC5C4FA FF015E0D
	v_mul_f32_dpp v227, v13, v227 row_newbcast:15 row_mask:0xf bank_mask:0xf// 00000000C1B4: 0BC7C6FA FF015F0D
	v_pk_mul_f32 v[224:225], v[44:45], v[224:225]              // 00000000C1BC: D3B140E0 1803C12C
	v_pk_mul_f32 v[226:227], v[44:45], v[226:227]              // 00000000C1C4: D3B140E2 1803C52C
	v_mov_b32_e32 v42, v25                                     // 00000000C1CC: 7E540319
	v_mov_b32_e32 v44, v21                                     // 00000000C1D0: 7E580315
	v_mov_b32_e32 v43, v42                                     // 00000000C1D4: 7E56032A
	v_mov_b32_e32 v45, v44                                     // 00000000C1D8: 7E5A032C
	v_cvt_f32_i32_e32 v204, v204                               // 00000000C1DC: 7F980BCC
	v_cvt_f32_i32_e32 v205, v205                               // 00000000C1E0: 7F9A0BCD
	v_cvt_f32_i32_e32 v206, v206                               // 00000000C1E4: 7F9C0BCE
	v_cvt_f32_i32_e32 v207, v207                               // 00000000C1E8: 7F9E0BCF
	v_pk_mul_f32 v[204:205], v[42:43], v[204:205]              // 00000000C1EC: D3B140CC 1803992A
	v_pk_mul_f32 v[206:207], v[42:43], v[206:207]              // 00000000C1F4: D3B140CE 18039D2A
	v_mul_f32_dpp v204, v13, v204 row_newbcast:0 row_mask:0xf bank_mask:0xf// 00000000C1FC: 0B9998FA FF01500D
	v_mul_f32_dpp v205, v13, v205 row_newbcast:1 row_mask:0xf bank_mask:0xf// 00000000C204: 0B9B9AFA FF01510D
	v_mul_f32_dpp v206, v13, v206 row_newbcast:2 row_mask:0xf bank_mask:0xf// 00000000C20C: 0B9D9CFA FF01520D
	v_mul_f32_dpp v207, v13, v207 row_newbcast:3 row_mask:0xf bank_mask:0xf// 00000000C214: 0B9F9EFA FF01530D
	v_pk_mul_f32 v[204:205], v[44:45], v[204:205]              // 00000000C21C: D3B140CC 1803992C
	v_pk_mul_f32 v[206:207], v[44:45], v[206:207]              // 00000000C224: D3B140CE 18039D2C
	v_cvt_f32_i32_e32 v212, v212                               // 00000000C22C: 7FA80BD4
	v_cvt_f32_i32_e32 v213, v213                               // 00000000C230: 7FAA0BD5
	v_cvt_f32_i32_e32 v214, v214                               // 00000000C234: 7FAC0BD6
	v_cvt_f32_i32_e32 v215, v215                               // 00000000C238: 7FAE0BD7
	v_pk_mul_f32 v[212:213], v[42:43], v[212:213]              // 00000000C23C: D3B140D4 1803A92A
	v_pk_mul_f32 v[214:215], v[42:43], v[214:215]              // 00000000C244: D3B140D6 1803AD2A
	v_mul_f32_dpp v212, v13, v212 row_newbcast:4 row_mask:0xf bank_mask:0xf// 00000000C24C: 0BA9A8FA FF01540D
	v_mul_f32_dpp v213, v13, v213 row_newbcast:5 row_mask:0xf bank_mask:0xf// 00000000C254: 0BABAAFA FF01550D
	v_mul_f32_dpp v214, v13, v214 row_newbcast:6 row_mask:0xf bank_mask:0xf// 00000000C25C: 0BADACFA FF01560D
	v_mul_f32_dpp v215, v13, v215 row_newbcast:7 row_mask:0xf bank_mask:0xf// 00000000C264: 0BAFAEFA FF01570D
	v_pk_mul_f32 v[212:213], v[44:45], v[212:213]              // 00000000C26C: D3B140D4 1803A92C
	v_pk_mul_f32 v[214:215], v[44:45], v[214:215]              // 00000000C274: D3B140D6 1803AD2C
	v_cvt_f32_i32_e32 v220, v220                               // 00000000C27C: 7FB80BDC
	v_cvt_f32_i32_e32 v221, v221                               // 00000000C280: 7FBA0BDD
	v_cvt_f32_i32_e32 v222, v222                               // 00000000C284: 7FBC0BDE
	v_cvt_f32_i32_e32 v223, v223                               // 00000000C288: 7FBE0BDF
	v_pk_mul_f32 v[220:221], v[42:43], v[220:221]              // 00000000C28C: D3B140DC 1803B92A
	v_pk_mul_f32 v[222:223], v[42:43], v[222:223]              // 00000000C294: D3B140DE 1803BD2A
	v_mul_f32_dpp v220, v13, v220 row_newbcast:8 row_mask:0xf bank_mask:0xf// 00000000C29C: 0BB9B8FA FF01580D
	v_mul_f32_dpp v221, v13, v221 row_newbcast:9 row_mask:0xf bank_mask:0xf// 00000000C2A4: 0BBBBAFA FF01590D
	v_mul_f32_dpp v222, v13, v222 row_newbcast:10 row_mask:0xf bank_mask:0xf// 00000000C2AC: 0BBDBCFA FF015A0D
	v_mul_f32_dpp v223, v13, v223 row_newbcast:11 row_mask:0xf bank_mask:0xf// 00000000C2B4: 0BBFBEFA FF015B0D
	v_pk_mul_f32 v[220:221], v[44:45], v[220:221]              // 00000000C2BC: D3B140DC 1803B92C
	v_pk_mul_f32 v[222:223], v[44:45], v[222:223]              // 00000000C2C4: D3B140DE 1803BD2C
	v_cvt_f32_i32_e32 v228, v228                               // 00000000C2CC: 7FC80BE4
	v_cvt_f32_i32_e32 v229, v229                               // 00000000C2D0: 7FCA0BE5
	v_cvt_f32_i32_e32 v230, v230                               // 00000000C2D4: 7FCC0BE6
	v_cvt_f32_i32_e32 v231, v231                               // 00000000C2D8: 7FCE0BE7
	v_pk_mul_f32 v[228:229], v[42:43], v[228:229]              // 00000000C2DC: D3B140E4 1803C92A
	v_pk_mul_f32 v[230:231], v[42:43], v[230:231]              // 00000000C2E4: D3B140E6 1803CD2A
	v_mul_f32_dpp v228, v13, v228 row_newbcast:12 row_mask:0xf bank_mask:0xf// 00000000C2EC: 0BC9C8FA FF015C0D
	v_mul_f32_dpp v229, v13, v229 row_newbcast:13 row_mask:0xf bank_mask:0xf// 00000000C2F4: 0BCBCAFA FF015D0D
	v_mul_f32_dpp v230, v13, v230 row_newbcast:14 row_mask:0xf bank_mask:0xf// 00000000C2FC: 0BCDCCFA FF015E0D
	v_mul_f32_dpp v231, v13, v231 row_newbcast:15 row_mask:0xf bank_mask:0xf// 00000000C304: 0BCFCEFA FF015F0D
	v_pk_mul_f32 v[228:229], v[44:45], v[228:229]              // 00000000C30C: D3B140E4 1803C92C
	v_pk_mul_f32 v[230:231], v[44:45], v[230:231]              // 00000000C314: D3B140E6 1803CD2C
	v_cvt_pkrtz_f16_f32 v200, v200, v201                       // 00000000C31C: D29600C8 000393C8
	v_cvt_pkrtz_f16_f32 v201, v202, v203                       // 00000000C324: D29600C9 000397CA
	v_cvt_pkrtz_f16_f32 v202, v204, v205                       // 00000000C32C: D29600CA 00039BCC
	v_cvt_pkrtz_f16_f32 v203, v206, v207                       // 00000000C334: D29600CB 00039FCE
	v_cvt_pkrtz_f16_f32 v204, v208, v209                       // 00000000C33C: D29600CC 0003A3D0
	v_cvt_pkrtz_f16_f32 v205, v210, v211                       // 00000000C344: D29600CD 0003A7D2
	v_cvt_pkrtz_f16_f32 v206, v212, v213                       // 00000000C34C: D29600CE 0003ABD4
	v_cvt_pkrtz_f16_f32 v207, v214, v215                       // 00000000C354: D29600CF 0003AFD6
	v_cvt_pkrtz_f16_f32 v208, v216, v217                       // 00000000C35C: D29600D0 0003B3D8
	v_cvt_pkrtz_f16_f32 v209, v218, v219                       // 00000000C364: D29600D1 0003B7DA
	v_cvt_pkrtz_f16_f32 v210, v220, v221                       // 00000000C36C: D29600D2 0003BBDC
	v_cvt_pkrtz_f16_f32 v211, v222, v223                       // 00000000C374: D29600D3 0003BFDE
	v_cvt_pkrtz_f16_f32 v212, v224, v225                       // 00000000C37C: D29600D4 0003C3E0
	v_cvt_pkrtz_f16_f32 v213, v226, v227                       // 00000000C384: D29600D5 0003C7E2
	v_cvt_pkrtz_f16_f32 v214, v228, v229                       // 00000000C38C: D29600D6 0003CBE4
	v_cvt_pkrtz_f16_f32 v215, v230, v231                       // 00000000C394: D29600D7 0003CFE6
	s_cmp_ge_u32 s80, 0x200                                    // 00000000C39C: BF09FF50 00000200
	s_cselect_b32 s59, 0x200, s59                              // 00000000C3A4: 853B3BFF 00000200
	s_mov_b64 exec, s[20:21]                                   // 00000000C3AC: BEFE0114
	global_atomic_pk_add_f16 v80, v64, s[8:9]                  // 00000000C3B0: DD388000 00084050
	s_mov_b64 exec, s[36:37]                                   // 00000000C3B8: BEFE0124
	s_mov_b64 exec, s[20:21]                                   // 00000000C3BC: BEFE0114
	global_atomic_pk_add_f16 v80, v65, s[8:9] offset:256       // 00000000C3C0: DD388100 00084150
	s_mov_b64 exec, s[36:37]                                   // 00000000C3C8: BEFE0124
	s_mov_b64 exec, s[22:23]                                   // 00000000C3CC: BEFE0116
	global_atomic_pk_add_f16 v82, v66, s[8:9]                  // 00000000C3D0: DD388000 00084252
	s_mov_b64 exec, s[36:37]                                   // 00000000C3D8: BEFE0124
	s_mov_b64 exec, s[22:23]                                   // 00000000C3DC: BEFE0116
	global_atomic_pk_add_f16 v82, v67, s[8:9] offset:256       // 00000000C3E0: DD388100 00084352
	s_mov_b64 exec, s[36:37]                                   // 00000000C3E8: BEFE0124
	s_mov_b64 exec, s[24:25]                                   // 00000000C3EC: BEFE0118
	global_atomic_pk_add_f16 v84, v68, s[8:9]                  // 00000000C3F0: DD388000 00084454
	s_mov_b64 exec, s[36:37]                                   // 00000000C3F8: BEFE0124
	s_mov_b64 exec, s[24:25]                                   // 00000000C3FC: BEFE0118
	global_atomic_pk_add_f16 v84, v69, s[8:9] offset:256       // 00000000C400: DD388100 00084554
	s_mov_b64 exec, s[36:37]                                   // 00000000C408: BEFE0124
	s_mov_b64 exec, s[26:27]                                   // 00000000C40C: BEFE011A
	global_atomic_pk_add_f16 v86, v70, s[8:9]                  // 00000000C410: DD388000 00084656
	s_mov_b64 exec, s[36:37]                                   // 00000000C418: BEFE0124
	s_mov_b64 exec, s[26:27]                                   // 00000000C41C: BEFE011A
	global_atomic_pk_add_f16 v86, v71, s[8:9] offset:256       // 00000000C420: DD388100 00084756
	s_mov_b64 exec, s[36:37]                                   // 00000000C428: BEFE0124
	s_mov_b64 exec, s[28:29]                                   // 00000000C42C: BEFE011C
	global_atomic_pk_add_f16 v88, v72, s[8:9]                  // 00000000C430: DD388000 00084858
	s_mov_b64 exec, s[36:37]                                   // 00000000C438: BEFE0124
	s_mov_b64 exec, s[28:29]                                   // 00000000C43C: BEFE011C
	global_atomic_pk_add_f16 v88, v73, s[8:9] offset:256       // 00000000C440: DD388100 00084958
	s_mov_b64 exec, s[36:37]                                   // 00000000C448: BEFE0124
	s_mov_b64 exec, s[30:31]                                   // 00000000C44C: BEFE011E
	global_atomic_pk_add_f16 v90, v74, s[8:9]                  // 00000000C450: DD388000 00084A5A
	s_mov_b64 exec, s[36:37]                                   // 00000000C458: BEFE0124
	s_mov_b64 exec, s[30:31]                                   // 00000000C45C: BEFE011E
	global_atomic_pk_add_f16 v90, v75, s[8:9] offset:256       // 00000000C460: DD388100 00084B5A
	s_mov_b64 exec, s[36:37]                                   // 00000000C468: BEFE0124
	s_mov_b64 exec, s[32:33]                                   // 00000000C46C: BEFE0120
	global_atomic_pk_add_f16 v92, v76, s[8:9]                  // 00000000C470: DD388000 00084C5C
	s_mov_b64 exec, s[36:37]                                   // 00000000C478: BEFE0124
	s_mov_b64 exec, s[32:33]                                   // 00000000C47C: BEFE0120
	global_atomic_pk_add_f16 v92, v77, s[8:9] offset:256       // 00000000C480: DD388100 00084D5C
	s_mov_b64 exec, s[36:37]                                   // 00000000C488: BEFE0124
	s_mov_b64 exec, s[34:35]                                   // 00000000C48C: BEFE0122
	global_atomic_pk_add_f16 v94, v78, s[8:9]                  // 00000000C490: DD388000 00084E5E
	s_mov_b64 exec, s[36:37]                                   // 00000000C498: BEFE0124
	s_mov_b64 exec, s[34:35]                                   // 00000000C49C: BEFE0122
	global_atomic_pk_add_f16 v94, v79, s[8:9] offset:256       // 00000000C4A0: DD388100 00084F5E
	s_mov_b64 exec, s[36:37]                                   // 00000000C4A8: BEFE0124
	s_add_u32 s8, s59, s8                                      // 00000000C4AC: 8008083B
	s_addc_u32 s9, 0, s9                                       // 00000000C4B0: 82090980
	s_addk_i32 s80, 0x100                                      // 00000000C4B4: B7500100
	s_cmp_lt_i32 s80, s81                                      // 00000000C4B8: BF045150
	s_cbranch_scc0 label_14D1                                  // 00000000C4BC: BF84EF21
	s_branch label_216A                                        // 00000000C4C0: BF82FBB9

000000000000c4c4 <label_25B1>:
	s_cmp_ge_u32 s59, 0                                        // 00000000C4C4: BF09803B
	s_cselect_b32 s59, 0x200, s59                              // 00000000C4C8: 853B3BFF 00000200
	s_waitcnt lgkmcnt(0)                                       // 00000000C4D0: BF8CC07F
	s_barrier                                                  // 00000000C4D4: BF8A0000
	s_cmp_eq_u32 s64, 0x100                                    // 00000000C4D8: BF06FF40 00000100
	s_cbranch_scc0 label_262D                                  // 00000000C4E0: BF840074
	ds_write_b64 v3, v[168:169] offset:2048                    // 00000000C4E4: D89A0800 0000A803
	ds_write_b64 v3, v[170:171] offset:10752                   // 00000000C4EC: D89A2A00 0000AA03
	ds_write_b64 v3, v[172:173] offset:4224                    // 00000000C4F4: D89A1080 0000AC03
	ds_write_b64 v3, v[174:175] offset:12928                   // 00000000C4FC: D89A3280 0000AE03
	ds_write_b64 v3, v[176:177] offset:6400                    // 00000000C504: D89A1900 0000B003
	ds_write_b64 v3, v[178:179] offset:15104                   // 00000000C50C: D89A3B00 0000B203
	ds_write_b64 v3, v[180:181] offset:8576                    // 00000000C514: D89A2180 0000B403
	ds_write_b64 v3, v[182:183] offset:17280                   // 00000000C51C: D89A4380 0000B603
	s_waitcnt lgkmcnt(0)                                       // 00000000C524: BF8CC07F
	s_barrier                                                  // 00000000C528: BF8A0000
	ds_read_b32 v64, v4 offset:2048                            // 00000000C52C: D86C0800 40000004
	ds_read_b32 v65, v4 offset:6400                            // 00000000C534: D86C1900 41000004
	ds_read_b32 v66, v4 offset:2080                            // 00000000C53C: D86C0820 42000004
	ds_read_b32 v67, v4 offset:6432                            // 00000000C544: D86C1920 43000004
	ds_read_b32 v68, v4 offset:2112                            // 00000000C54C: D86C0840 44000004
	ds_read_b32 v69, v4 offset:6464                            // 00000000C554: D86C1940 45000004
	ds_read_b32 v70, v4 offset:2144                            // 00000000C55C: D86C0860 46000004
	ds_read_b32 v71, v4 offset:6496                            // 00000000C564: D86C1960 47000004
	ds_read_b32 v72, v4 offset:10752                           // 00000000C56C: D86C2A00 48000004
	ds_read_b32 v73, v4 offset:15104                           // 00000000C574: D86C3B00 49000004
	ds_read_b32 v74, v4 offset:10784                           // 00000000C57C: D86C2A20 4A000004
	ds_read_b32 v75, v4 offset:15136                           // 00000000C584: D86C3B20 4B000004
	ds_read_b32 v76, v4 offset:10816                           // 00000000C58C: D86C2A40 4C000004
	ds_read_b32 v77, v4 offset:15168                           // 00000000C594: D86C3B40 4D000004
	ds_read_b32 v78, v4 offset:10848                           // 00000000C59C: D86C2A60 4E000004
	ds_read_b32 v79, v4 offset:15200                           // 00000000C5A4: D86C3B60 4F000004
	s_waitcnt lgkmcnt(0)                                       // 00000000C5AC: BF8CC07F
	s_mov_b64 exec, s[20:21]                                   // 00000000C5B0: BEFE0114
	global_atomic_pk_add_f16 v80, v64, s[8:9]                  // 00000000C5B4: DD388000 00084050
	s_mov_b64 exec, s[36:37]                                   // 00000000C5BC: BEFE0124
	s_mov_b64 exec, s[20:21]                                   // 00000000C5C0: BEFE0114
	global_atomic_pk_add_f16 v80, v65, s[8:9] offset:256       // 00000000C5C4: DD388100 00084150
	s_mov_b64 exec, s[36:37]                                   // 00000000C5CC: BEFE0124
	s_mov_b64 exec, s[22:23]                                   // 00000000C5D0: BEFE0116
	global_atomic_pk_add_f16 v82, v66, s[8:9]                  // 00000000C5D4: DD388000 00084252
	s_mov_b64 exec, s[36:37]                                   // 00000000C5DC: BEFE0124
	s_mov_b64 exec, s[22:23]                                   // 00000000C5E0: BEFE0116
	global_atomic_pk_add_f16 v82, v67, s[8:9] offset:256       // 00000000C5E4: DD388100 00084352
	s_mov_b64 exec, s[36:37]                                   // 00000000C5EC: BEFE0124
	s_mov_b64 exec, s[24:25]                                   // 00000000C5F0: BEFE0118
	global_atomic_pk_add_f16 v84, v68, s[8:9]                  // 00000000C5F4: DD388000 00084454
	s_mov_b64 exec, s[36:37]                                   // 00000000C5FC: BEFE0124
	s_mov_b64 exec, s[24:25]                                   // 00000000C600: BEFE0118
	global_atomic_pk_add_f16 v84, v69, s[8:9] offset:256       // 00000000C604: DD388100 00084554
	s_mov_b64 exec, s[36:37]                                   // 00000000C60C: BEFE0124
	s_mov_b64 exec, s[26:27]                                   // 00000000C610: BEFE011A
	global_atomic_pk_add_f16 v86, v70, s[8:9]                  // 00000000C614: DD388000 00084656
	s_mov_b64 exec, s[36:37]                                   // 00000000C61C: BEFE0124
	s_mov_b64 exec, s[26:27]                                   // 00000000C620: BEFE011A
	global_atomic_pk_add_f16 v86, v71, s[8:9] offset:256       // 00000000C624: DD388100 00084756
	s_mov_b64 exec, s[36:37]                                   // 00000000C62C: BEFE0124
	s_mov_b64 exec, s[28:29]                                   // 00000000C630: BEFE011C
	global_atomic_pk_add_f16 v88, v72, s[8:9]                  // 00000000C634: DD388000 00084858
	s_mov_b64 exec, s[36:37]                                   // 00000000C63C: BEFE0124
	s_mov_b64 exec, s[28:29]                                   // 00000000C640: BEFE011C
	global_atomic_pk_add_f16 v88, v73, s[8:9] offset:256       // 00000000C644: DD388100 00084958
	s_mov_b64 exec, s[36:37]                                   // 00000000C64C: BEFE0124
	s_mov_b64 exec, s[30:31]                                   // 00000000C650: BEFE011E
	global_atomic_pk_add_f16 v90, v74, s[8:9]                  // 00000000C654: DD388000 00084A5A
	s_mov_b64 exec, s[36:37]                                   // 00000000C65C: BEFE0124
	s_mov_b64 exec, s[30:31]                                   // 00000000C660: BEFE011E
	global_atomic_pk_add_f16 v90, v75, s[8:9] offset:256       // 00000000C664: DD388100 00084B5A
	s_mov_b64 exec, s[36:37]                                   // 00000000C66C: BEFE0124
	s_mov_b64 exec, s[32:33]                                   // 00000000C670: BEFE0120
	global_atomic_pk_add_f16 v92, v76, s[8:9]                  // 00000000C674: DD388000 00084C5C
	s_mov_b64 exec, s[36:37]                                   // 00000000C67C: BEFE0124
	s_mov_b64 exec, s[32:33]                                   // 00000000C680: BEFE0120
	global_atomic_pk_add_f16 v92, v77, s[8:9] offset:256       // 00000000C684: DD388100 00084D5C
	s_mov_b64 exec, s[36:37]                                   // 00000000C68C: BEFE0124
	s_mov_b64 exec, s[34:35]                                   // 00000000C690: BEFE0122
	global_atomic_pk_add_f16 v94, v78, s[8:9]                  // 00000000C694: DD388000 00084E5E
	s_mov_b64 exec, s[36:37]                                   // 00000000C69C: BEFE0124
	s_mov_b64 exec, s[34:35]                                   // 00000000C6A0: BEFE0122
	global_atomic_pk_add_f16 v94, v79, s[8:9] offset:256       // 00000000C6A4: DD388100 00084F5E
	s_mov_b64 exec, s[36:37]                                   // 00000000C6AC: BEFE0124
	s_branch label_2703                                        // 00000000C6B0: BF8200D6

000000000000c6b4 <label_262D>:
	ds_read_b32 v64, v4 offset:2048                            // 00000000C6B4: D86C0800 40000004
	ds_read_b32 v65, v4 offset:6400                            // 00000000C6BC: D86C1900 41000004
	ds_read_b32 v66, v4 offset:2080                            // 00000000C6C4: D86C0820 42000004
	ds_read_b32 v67, v4 offset:6432                            // 00000000C6CC: D86C1920 43000004
	ds_read_b32 v68, v4 offset:2112                            // 00000000C6D4: D86C0840 44000004
	ds_read_b32 v69, v4 offset:6464                            // 00000000C6DC: D86C1940 45000004
	ds_read_b32 v70, v4 offset:2144                            // 00000000C6E4: D86C0860 46000004
	ds_read_b32 v71, v4 offset:6496                            // 00000000C6EC: D86C1960 47000004
	ds_read_b32 v72, v4 offset:10752                           // 00000000C6F4: D86C2A00 48000004
	ds_read_b32 v73, v4 offset:15104                           // 00000000C6FC: D86C3B00 49000004
	ds_read_b32 v74, v4 offset:10784                           // 00000000C704: D86C2A20 4A000004
	ds_read_b32 v75, v4 offset:15136                           // 00000000C70C: D86C3B20 4B000004
	ds_read_b32 v76, v4 offset:10816                           // 00000000C714: D86C2A40 4C000004
	ds_read_b32 v77, v4 offset:15168                           // 00000000C71C: D86C3B40 4D000004
	ds_read_b32 v78, v4 offset:10848                           // 00000000C724: D86C2A60 4E000004
	ds_read_b32 v79, v4 offset:15200                           // 00000000C72C: D86C3B60 4F000004
	s_waitcnt lgkmcnt(0)                                       // 00000000C734: BF8CC07F
	s_mov_b64 exec, s[20:21]                                   // 00000000C738: BEFE0114
	global_atomic_pk_add_f16 v80, v64, s[8:9]                  // 00000000C73C: DD388000 00084050
	s_mov_b64 exec, s[36:37]                                   // 00000000C744: BEFE0124
	s_mov_b64 exec, s[20:21]                                   // 00000000C748: BEFE0114
	global_atomic_pk_add_f16 v80, v65, s[8:9] offset:256       // 00000000C74C: DD388100 00084150
	s_mov_b64 exec, s[36:37]                                   // 00000000C754: BEFE0124
	s_mov_b64 exec, s[22:23]                                   // 00000000C758: BEFE0116
	global_atomic_pk_add_f16 v82, v66, s[8:9]                  // 00000000C75C: DD388000 00084252
	s_mov_b64 exec, s[36:37]                                   // 00000000C764: BEFE0124
	s_mov_b64 exec, s[22:23]                                   // 00000000C768: BEFE0116
	global_atomic_pk_add_f16 v82, v67, s[8:9] offset:256       // 00000000C76C: DD388100 00084352
	s_mov_b64 exec, s[36:37]                                   // 00000000C774: BEFE0124
	s_mov_b64 exec, s[24:25]                                   // 00000000C778: BEFE0118
	global_atomic_pk_add_f16 v84, v68, s[8:9]                  // 00000000C77C: DD388000 00084454
	s_mov_b64 exec, s[36:37]                                   // 00000000C784: BEFE0124
	s_mov_b64 exec, s[24:25]                                   // 00000000C788: BEFE0118
	global_atomic_pk_add_f16 v84, v69, s[8:9] offset:256       // 00000000C78C: DD388100 00084554
	s_mov_b64 exec, s[36:37]                                   // 00000000C794: BEFE0124
	s_mov_b64 exec, s[26:27]                                   // 00000000C798: BEFE011A
	global_atomic_pk_add_f16 v86, v70, s[8:9]                  // 00000000C79C: DD388000 00084656
	s_mov_b64 exec, s[36:37]                                   // 00000000C7A4: BEFE0124
	s_mov_b64 exec, s[26:27]                                   // 00000000C7A8: BEFE011A
	global_atomic_pk_add_f16 v86, v71, s[8:9] offset:256       // 00000000C7AC: DD388100 00084756
	s_mov_b64 exec, s[36:37]                                   // 00000000C7B4: BEFE0124
	s_mov_b64 exec, s[28:29]                                   // 00000000C7B8: BEFE011C
	global_atomic_pk_add_f16 v88, v72, s[8:9]                  // 00000000C7BC: DD388000 00084858
	s_mov_b64 exec, s[36:37]                                   // 00000000C7C4: BEFE0124
	s_mov_b64 exec, s[28:29]                                   // 00000000C7C8: BEFE011C
	global_atomic_pk_add_f16 v88, v73, s[8:9] offset:256       // 00000000C7CC: DD388100 00084958
	s_mov_b64 exec, s[36:37]                                   // 00000000C7D4: BEFE0124
	s_mov_b64 exec, s[30:31]                                   // 00000000C7D8: BEFE011E
	global_atomic_pk_add_f16 v90, v74, s[8:9]                  // 00000000C7DC: DD388000 00084A5A
	s_mov_b64 exec, s[36:37]                                   // 00000000C7E4: BEFE0124
	s_mov_b64 exec, s[30:31]                                   // 00000000C7E8: BEFE011E
	global_atomic_pk_add_f16 v90, v75, s[8:9] offset:256       // 00000000C7EC: DD388100 00084B5A
	s_mov_b64 exec, s[36:37]                                   // 00000000C7F4: BEFE0124
	s_mov_b64 exec, s[32:33]                                   // 00000000C7F8: BEFE0120
	global_atomic_pk_add_f16 v92, v76, s[8:9]                  // 00000000C7FC: DD388000 00084C5C
	s_mov_b64 exec, s[36:37]                                   // 00000000C804: BEFE0124
	s_mov_b64 exec, s[32:33]                                   // 00000000C808: BEFE0120
	global_atomic_pk_add_f16 v92, v77, s[8:9] offset:256       // 00000000C80C: DD388100 00084D5C
	s_mov_b64 exec, s[36:37]                                   // 00000000C814: BEFE0124
	s_mov_b64 exec, s[34:35]                                   // 00000000C818: BEFE0122
	global_atomic_pk_add_f16 v94, v78, s[8:9]                  // 00000000C81C: DD388000 00084E5E
	s_mov_b64 exec, s[36:37]                                   // 00000000C824: BEFE0124
	s_mov_b64 exec, s[34:35]                                   // 00000000C828: BEFE0122
	global_atomic_pk_add_f16 v94, v79, s[8:9] offset:256       // 00000000C82C: DD388100 00084F5E
	s_mov_b64 exec, s[36:37]                                   // 00000000C834: BEFE0124
	s_add_u32 s8, s59, s8                                      // 00000000C838: 8008083B
	s_addc_u32 s9, 0, s9                                       // 00000000C83C: 82090980
	ds_write_b64 v3, v[200:201] offset:19456                   // 00000000C840: D89A4C00 0000C803
	ds_write_b64 v3, v[202:203] offset:28160                   // 00000000C848: D89A6E00 0000CA03
	ds_write_b64 v3, v[204:205] offset:21632                   // 00000000C850: D89A5480 0000CC03
	ds_write_b64 v3, v[206:207] offset:30336                   // 00000000C858: D89A7680 0000CE03
	ds_write_b64 v3, v[208:209] offset:23808                   // 00000000C860: D89A5D00 0000D003
	ds_write_b64 v3, v[210:211] offset:32512                   // 00000000C868: D89A7F00 0000D203
	ds_write_b64 v3, v[212:213] offset:25984                   // 00000000C870: D89A6580 0000D403
	ds_write_b64 v3, v[214:215] offset:34688                   // 00000000C878: D89A8780 0000D603
	s_waitcnt lgkmcnt(0)                                       // 00000000C880: BF8CC07F
	s_barrier                                                  // 00000000C884: BF8A0000
	ds_read_b32 v64, v4 offset:19456                           // 00000000C888: D86C4C00 40000004
	ds_read_b32 v65, v4 offset:23808                           // 00000000C890: D86C5D00 41000004
	ds_read_b32 v66, v4 offset:19488                           // 00000000C898: D86C4C20 42000004
	ds_read_b32 v67, v4 offset:23840                           // 00000000C8A0: D86C5D20 43000004
	ds_read_b32 v68, v4 offset:19520                           // 00000000C8A8: D86C4C40 44000004
	ds_read_b32 v69, v4 offset:23872                           // 00000000C8B0: D86C5D40 45000004
	ds_read_b32 v70, v4 offset:19552                           // 00000000C8B8: D86C4C60 46000004
	ds_read_b32 v71, v4 offset:23904                           // 00000000C8C0: D86C5D60 47000004
	ds_read_b32 v72, v4 offset:28160                           // 00000000C8C8: D86C6E00 48000004
	ds_read_b32 v73, v4 offset:32512                           // 00000000C8D0: D86C7F00 49000004
	ds_read_b32 v74, v4 offset:28192                           // 00000000C8D8: D86C6E20 4A000004
	ds_read_b32 v75, v4 offset:32544                           // 00000000C8E0: D86C7F20 4B000004
	ds_read_b32 v76, v4 offset:28224                           // 00000000C8E8: D86C6E40 4C000004
	ds_read_b32 v77, v4 offset:32576                           // 00000000C8F0: D86C7F40 4D000004
	ds_read_b32 v78, v4 offset:28256                           // 00000000C8F8: D86C6E60 4E000004
	ds_read_b32 v79, v4 offset:32608                           // 00000000C900: D86C7F60 4F000004
	s_waitcnt lgkmcnt(0)                                       // 00000000C908: BF8CC07F
	s_mov_b64 exec, s[20:21]                                   // 00000000C90C: BEFE0114
	global_atomic_pk_add_f16 v80, v64, s[8:9]                  // 00000000C910: DD388000 00084050
	s_mov_b64 exec, s[36:37]                                   // 00000000C918: BEFE0124
	s_mov_b64 exec, s[20:21]                                   // 00000000C91C: BEFE0114
	global_atomic_pk_add_f16 v80, v65, s[8:9] offset:256       // 00000000C920: DD388100 00084150
	s_mov_b64 exec, s[36:37]                                   // 00000000C928: BEFE0124
	s_mov_b64 exec, s[22:23]                                   // 00000000C92C: BEFE0116
	global_atomic_pk_add_f16 v82, v66, s[8:9]                  // 00000000C930: DD388000 00084252
	s_mov_b64 exec, s[36:37]                                   // 00000000C938: BEFE0124
	s_mov_b64 exec, s[22:23]                                   // 00000000C93C: BEFE0116
	global_atomic_pk_add_f16 v82, v67, s[8:9] offset:256       // 00000000C940: DD388100 00084352
	s_mov_b64 exec, s[36:37]                                   // 00000000C948: BEFE0124
	s_mov_b64 exec, s[24:25]                                   // 00000000C94C: BEFE0118
	global_atomic_pk_add_f16 v84, v68, s[8:9]                  // 00000000C950: DD388000 00084454
	s_mov_b64 exec, s[36:37]                                   // 00000000C958: BEFE0124
	s_mov_b64 exec, s[24:25]                                   // 00000000C95C: BEFE0118
	global_atomic_pk_add_f16 v84, v69, s[8:9] offset:256       // 00000000C960: DD388100 00084554
	s_mov_b64 exec, s[36:37]                                   // 00000000C968: BEFE0124
	s_mov_b64 exec, s[26:27]                                   // 00000000C96C: BEFE011A
	global_atomic_pk_add_f16 v86, v70, s[8:9]                  // 00000000C970: DD388000 00084656
	s_mov_b64 exec, s[36:37]                                   // 00000000C978: BEFE0124
	s_mov_b64 exec, s[26:27]                                   // 00000000C97C: BEFE011A
	global_atomic_pk_add_f16 v86, v71, s[8:9] offset:256       // 00000000C980: DD388100 00084756
	s_mov_b64 exec, s[36:37]                                   // 00000000C988: BEFE0124
	s_mov_b64 exec, s[28:29]                                   // 00000000C98C: BEFE011C
	global_atomic_pk_add_f16 v88, v72, s[8:9]                  // 00000000C990: DD388000 00084858
	s_mov_b64 exec, s[36:37]                                   // 00000000C998: BEFE0124
	s_mov_b64 exec, s[28:29]                                   // 00000000C99C: BEFE011C
	global_atomic_pk_add_f16 v88, v73, s[8:9] offset:256       // 00000000C9A0: DD388100 00084958
	s_mov_b64 exec, s[36:37]                                   // 00000000C9A8: BEFE0124
	s_mov_b64 exec, s[30:31]                                   // 00000000C9AC: BEFE011E
	global_atomic_pk_add_f16 v90, v74, s[8:9]                  // 00000000C9B0: DD388000 00084A5A
	s_mov_b64 exec, s[36:37]                                   // 00000000C9B8: BEFE0124
	s_mov_b64 exec, s[30:31]                                   // 00000000C9BC: BEFE011E
	global_atomic_pk_add_f16 v90, v75, s[8:9] offset:256       // 00000000C9C0: DD388100 00084B5A
	s_mov_b64 exec, s[36:37]                                   // 00000000C9C8: BEFE0124
	s_mov_b64 exec, s[32:33]                                   // 00000000C9CC: BEFE0120
	global_atomic_pk_add_f16 v92, v76, s[8:9]                  // 00000000C9D0: DD388000 00084C5C
	s_mov_b64 exec, s[36:37]                                   // 00000000C9D8: BEFE0124
	s_mov_b64 exec, s[32:33]                                   // 00000000C9DC: BEFE0120
	global_atomic_pk_add_f16 v92, v77, s[8:9] offset:256       // 00000000C9E0: DD388100 00084D5C
	s_mov_b64 exec, s[36:37]                                   // 00000000C9E8: BEFE0124
	s_mov_b64 exec, s[34:35]                                   // 00000000C9EC: BEFE0122
	global_atomic_pk_add_f16 v94, v78, s[8:9]                  // 00000000C9F0: DD388000 00084E5E
	s_mov_b64 exec, s[36:37]                                   // 00000000C9F8: BEFE0124
	s_mov_b64 exec, s[34:35]                                   // 00000000C9FC: BEFE0122
	global_atomic_pk_add_f16 v94, v79, s[8:9] offset:256       // 00000000CA00: DD388100 00084F5E
	s_mov_b64 exec, s[36:37]                                   // 00000000CA08: BEFE0124

000000000000ca0c <label_2703>:
	s_waitcnt vmcnt(0) expcnt(0) lgkmcnt(0)                    // 00000000CA0C: BF8C0000
	s_endpgm                                                   // 00000000CA10: BF810000
